;; amdgpu-corpus repo=pytorch/pytorch kind=compiled arch=gfx950 opt=O3
	.amdgcn_target "amdgcn-amd-amdhsa--gfx950"
	.amdhsa_code_object_version 6
	.section	.text._ZN7rocprim17ROCPRIM_304000_NS6detail28radix_sort_block_sort_kernelINS1_36wrapped_radix_sort_block_sort_configINS0_13kernel_configILj256ELj4ELj4294967295EEEmN2at4cuda3cub6detail10OpaqueTypeILi8EEEEELb1EPKmPmPKSB_PSB_NS0_19identity_decomposerEEEvT1_T2_T3_T4_jT5_jj,"axG",@progbits,_ZN7rocprim17ROCPRIM_304000_NS6detail28radix_sort_block_sort_kernelINS1_36wrapped_radix_sort_block_sort_configINS0_13kernel_configILj256ELj4ELj4294967295EEEmN2at4cuda3cub6detail10OpaqueTypeILi8EEEEELb1EPKmPmPKSB_PSB_NS0_19identity_decomposerEEEvT1_T2_T3_T4_jT5_jj,comdat
	.protected	_ZN7rocprim17ROCPRIM_304000_NS6detail28radix_sort_block_sort_kernelINS1_36wrapped_radix_sort_block_sort_configINS0_13kernel_configILj256ELj4ELj4294967295EEEmN2at4cuda3cub6detail10OpaqueTypeILi8EEEEELb1EPKmPmPKSB_PSB_NS0_19identity_decomposerEEEvT1_T2_T3_T4_jT5_jj ; -- Begin function _ZN7rocprim17ROCPRIM_304000_NS6detail28radix_sort_block_sort_kernelINS1_36wrapped_radix_sort_block_sort_configINS0_13kernel_configILj256ELj4ELj4294967295EEEmN2at4cuda3cub6detail10OpaqueTypeILi8EEEEELb1EPKmPmPKSB_PSB_NS0_19identity_decomposerEEEvT1_T2_T3_T4_jT5_jj
	.globl	_ZN7rocprim17ROCPRIM_304000_NS6detail28radix_sort_block_sort_kernelINS1_36wrapped_radix_sort_block_sort_configINS0_13kernel_configILj256ELj4ELj4294967295EEEmN2at4cuda3cub6detail10OpaqueTypeILi8EEEEELb1EPKmPmPKSB_PSB_NS0_19identity_decomposerEEEvT1_T2_T3_T4_jT5_jj
	.p2align	8
	.type	_ZN7rocprim17ROCPRIM_304000_NS6detail28radix_sort_block_sort_kernelINS1_36wrapped_radix_sort_block_sort_configINS0_13kernel_configILj256ELj4ELj4294967295EEEmN2at4cuda3cub6detail10OpaqueTypeILi8EEEEELb1EPKmPmPKSB_PSB_NS0_19identity_decomposerEEEvT1_T2_T3_T4_jT5_jj,@function
_ZN7rocprim17ROCPRIM_304000_NS6detail28radix_sort_block_sort_kernelINS1_36wrapped_radix_sort_block_sort_configINS0_13kernel_configILj256ELj4ELj4294967295EEEmN2at4cuda3cub6detail10OpaqueTypeILi8EEEEELb1EPKmPmPKSB_PSB_NS0_19identity_decomposerEEEvT1_T2_T3_T4_jT5_jj: ; @_ZN7rocprim17ROCPRIM_304000_NS6detail28radix_sort_block_sort_kernelINS1_36wrapped_radix_sort_block_sort_configINS0_13kernel_configILj256ELj4ELj4294967295EEEmN2at4cuda3cub6detail10OpaqueTypeILi8EEEEELb1EPKmPmPKSB_PSB_NS0_19identity_decomposerEEEvT1_T2_T3_T4_jT5_jj
; %bb.0:
	s_load_dword s8, s[0:1], 0x20
	s_load_dwordx8 s[36:43], s[0:1], 0x0
	s_lshl_b32 s4, s2, 10
	s_mov_b32 s5, 0
	v_and_b32_e32 v10, 0x3ff, v0
	s_waitcnt lgkmcnt(0)
	s_lshr_b32 s3, s8, 10
	s_cmp_lg_u32 s2, s3
	s_cselect_b64 s[30:31], -1, 0
	s_lshl_b64 s[28:29], s[4:5], 3
	v_mbcnt_lo_u32_b32 v1, -1, 0
	s_add_u32 s6, s36, s28
	v_mbcnt_hi_u32_b32 v1, -1, v1
	v_lshlrev_b32_e32 v11, 2, v10
	s_addc_u32 s7, s37, s29
	v_and_b32_e32 v18, 0x300, v11
	v_mov_b32_e32 v15, 0
	v_lshlrev_b32_e32 v14, 3, v1
	v_lshl_add_u64 v[2:3], s[6:7], 0, v[14:15]
	v_lshlrev_b32_e32 v12, 3, v18
	v_mov_b32_e32 v13, v15
	s_cmp_eq_u32 s2, s3
	v_lshl_add_u64 v[16:17], v[2:3], 0, v[12:13]
	s_cbranch_scc1 .LBB0_2
; %bb.1:
	s_add_u32 s2, s40, s28
	s_addc_u32 s3, s41, s29
	v_lshl_add_u64 v[20:21], s[2:3], 0, v[14:15]
	global_load_dwordx2 v[2:3], v[16:17], off
	global_load_dwordx2 v[4:5], v[16:17], off offset:512
	global_load_dwordx2 v[6:7], v[16:17], off offset:1024
	;; [unrolled: 1-line block ×3, first 2 shown]
	v_lshl_add_u64 v[20:21], v[20:21], 0, v[12:13]
	global_load_dwordx2 v[42:43], v[20:21], off
	global_load_dwordx2 v[44:45], v[20:21], off offset:512
	global_load_dwordx2 v[46:47], v[20:21], off offset:1024
	s_mov_b64 s[6:7], -1
	s_sub_i32 s33, s8, s4
	s_cbranch_execz .LBB0_3
	s_branch .LBB0_16
.LBB0_2:
	s_mov_b64 s[6:7], 0
                                        ; implicit-def: $vgpr2_vgpr3_vgpr4_vgpr5_vgpr6_vgpr7_vgpr8_vgpr9
                                        ; implicit-def: $vgpr42_vgpr43
                                        ; implicit-def: $vgpr46_vgpr47
	s_sub_i32 s33, s8, s4
.LBB0_3:
	v_add_u32_e32 v13, v1, v18
	s_waitcnt vmcnt(6)
	v_mov_b32_e32 v2, 0
	v_cmp_gt_u32_e32 vcc, s33, v13
	v_mov_b32_e32 v3, v2
	s_waitcnt vmcnt(5)
	v_mov_b32_e32 v4, v2
	v_mov_b32_e32 v5, v2
	s_waitcnt vmcnt(4)
	v_mov_b32_e32 v6, v2
	;; [unrolled: 3-line block ×3, first 2 shown]
	v_mov_b32_e32 v9, v2
	s_and_saveexec_b64 s[2:3], vcc
	s_cbranch_execz .LBB0_5
; %bb.4:
	global_load_dwordx2 v[18:19], v[16:17], off
	v_mov_b32_e32 v20, v2
	v_mov_b32_e32 v21, v2
	;; [unrolled: 1-line block ×6, first 2 shown]
	s_waitcnt vmcnt(0)
	v_mov_b64_e32 v[2:3], v[18:19]
	v_mov_b64_e32 v[4:5], v[20:21]
	;; [unrolled: 1-line block ×4, first 2 shown]
.LBB0_5:
	s_or_b64 exec, exec, s[2:3]
	v_add_u32_e32 v15, 64, v13
	v_cmp_gt_u32_e64 s[2:3], s33, v15
	s_and_saveexec_b64 s[4:5], s[2:3]
	s_cbranch_execz .LBB0_7
; %bb.6:
	global_load_dwordx2 v[4:5], v[16:17], off offset:512
.LBB0_7:
	s_or_b64 exec, exec, s[4:5]
	v_add_u32_e32 v15, 0x80, v13
	v_cmp_gt_u32_e64 s[4:5], s33, v15
	s_and_saveexec_b64 s[6:7], s[4:5]
	s_cbranch_execz .LBB0_9
; %bb.8:
	global_load_dwordx2 v[6:7], v[16:17], off offset:1024
.LBB0_9:
	;; [unrolled: 8-line block ×3, first 2 shown]
	s_or_b64 exec, exec, s[8:9]
	s_add_u32 s8, s40, s28
	s_addc_u32 s9, s41, s29
	v_mov_b32_e32 v15, 0
	v_lshl_add_u64 v[16:17], s[8:9], 0, v[14:15]
	v_mov_b32_e32 v13, v15
	v_lshl_add_u64 v[16:17], v[16:17], 0, v[12:13]
                                        ; implicit-def: $vgpr42_vgpr43
	s_and_saveexec_b64 s[8:9], vcc
	s_cbranch_execnz .LBB0_55
; %bb.12:
	s_or_b64 exec, exec, s[8:9]
	s_and_saveexec_b64 s[8:9], s[2:3]
	s_cbranch_execnz .LBB0_56
.LBB0_13:
	s_or_b64 exec, exec, s[8:9]
                                        ; implicit-def: $vgpr46_vgpr47
	s_and_saveexec_b64 s[2:3], s[4:5]
	s_cbranch_execz .LBB0_15
.LBB0_14:
	global_load_dwordx2 v[46:47], v[16:17], off offset:1024
.LBB0_15:
	s_or_b64 exec, exec, s[2:3]
.LBB0_16:
	s_and_saveexec_b64 s[2:3], s[6:7]
	s_cbranch_execz .LBB0_18
; %bb.17:
	s_add_u32 s4, s40, s28
	s_addc_u32 s5, s41, s29
	v_mov_b32_e32 v15, 0
	v_lshl_add_u64 v[16:17], s[4:5], 0, v[14:15]
	v_mov_b32_e32 v13, v15
	v_lshl_add_u64 v[14:15], v[16:17], 0, v[12:13]
	global_load_dwordx2 v[48:49], v[14:15], off offset:1536
.LBB0_18:
	s_or_b64 exec, exec, s[2:3]
	s_load_dwordx2 s[34:35], s[0:1], 0x28
	v_bfe_u32 v13, v0, 10, 10
	s_load_dword s0, s[0:1], 0x3c
	v_bfe_u32 v0, v0, 20, 10
	s_mov_b32 s26, 0
	s_mov_b32 s27, s26
	;; [unrolled: 1-line block ×3, first 2 shown]
	s_waitcnt lgkmcnt(0)
	s_lshr_b32 s1, s0, 16
	s_and_b32 s0, s0, 0xffff
	v_mad_u32_u24 v0, v0, s1, v13
	v_mad_u64_u32 v[14:15], s[0:1], v0, s0, v[10:11]
	v_lshrrev_b32_e32 v0, 4, v14
	v_and_b32_e32 v34, 0xffffffc, v0
	v_and_b32_e32 v0, 15, v1
	v_cmp_eq_u32_e64 s[0:1], 0, v0
	v_cmp_lt_u32_e64 s[2:3], 1, v0
	v_cmp_lt_u32_e64 s[4:5], 3, v0
	;; [unrolled: 1-line block ×3, first 2 shown]
	v_and_b32_e32 v0, 16, v1
	v_cmp_eq_u32_e64 s[8:9], 0, v0
	v_and_b32_e32 v0, 0x3c0, v10
	v_min_u32_e32 v0, 0xc0, v0
	v_or_b32_e32 v0, 63, v0
	v_cmp_eq_u32_e64 s[12:13], v10, v0
	v_subrev_co_u32_e64 v0, s[18:19], 1, v1
	v_and_b32_e32 v13, 64, v1
	v_cmp_lt_i32_e32 vcc, v0, v13
	v_lshlrev_b32_e32 v11, 2, v11
	v_and_b32_e32 v13, 3, v1
	v_cndmask_b32_e32 v0, v0, v1, vcc
	v_lshlrev_b32_e32 v35, 2, v0
	v_lshrrev_b32_e32 v0, 4, v10
	v_and_b32_e32 v36, 60, v0
	v_mul_i32_i24_e32 v0, -12, v10
	s_mov_b32 s41, s26
	s_waitcnt vmcnt(6)
	v_not_b32_e32 v3, v3
	v_not_b32_e32 v2, v2
	s_waitcnt vmcnt(0)
	v_not_b32_e32 v5, v5
	s_add_i32 s36, s35, s34
	v_not_b32_e32 v4, v4
	v_not_b32_e32 v7, v7
	;; [unrolled: 1-line block ×5, first 2 shown]
	v_cmp_lt_u32_e64 s[10:11], 31, v1
	v_cmp_gt_u32_e64 s[14:15], 4, v10
	v_cmp_lt_u32_e64 s[16:17], 63, v10
	v_cmp_eq_u32_e64 s[20:21], 0, v10
	v_cmp_eq_u32_e64 s[22:23], 0, v13
	v_cmp_lt_u32_e64 s[24:25], 1, v13
	v_add_u32_e32 v37, -4, v36
	v_lshl_add_u32 v38, v1, 3, v12
	v_mov_b64_e32 v[20:21], s[26:27]
	v_mov_b64_e32 v[22:23], s[40:41]
	v_mov_b32_e32 v25, 0
	v_add_u32_e32 v39, v11, v0
	s_branch .LBB0_20
.LBB0_19:                               ;   in Loop: Header=BB0_20 Depth=1
	s_andn2_b64 vcc, exec, s[26:27]
	s_cbranch_vccz .LBB0_36
.LBB0_20:                               ; =>This Inner Loop Header: Depth=1
	v_mov_b64_e32 v[32:33], v[2:3]
	s_min_u32 s26, s35, 8
	s_lshl_b32 s37, -1, s26
	v_lshrrev_b64 v[0:1], s34, v[32:33]
	v_bitop3_b32 v2, v0, s37, v0 bitop3:0x30
	v_and_b32_e32 v24, 1, v2
	v_lshl_add_u64 v[0:1], v[24:25], 0, -1
	v_cmp_ne_u32_e32 vcc, 0, v24
	v_mov_b64_e32 v[30:31], v[4:5]
	v_lshlrev_b32_e32 v3, 4, v2
	v_xor_b32_e32 v1, vcc_hi, v1
	v_xor_b32_e32 v0, vcc_lo, v0
	v_and_b32_e32 v4, exec_hi, v1
	v_and_b32_e32 v5, exec_lo, v0
	v_lshlrev_b32_e32 v1, 30, v2
	v_mov_b32_e32 v0, v25
	v_cmp_gt_i64_e32 vcc, 0, v[0:1]
	v_not_b32_e32 v0, v1
	v_ashrrev_i32_e32 v0, 31, v0
	v_xor_b32_e32 v1, vcc_hi, v0
	v_xor_b32_e32 v0, vcc_lo, v0
	v_and_b32_e32 v4, v4, v1
	v_and_b32_e32 v5, v5, v0
	v_lshlrev_b32_e32 v1, 29, v2
	v_mov_b32_e32 v0, v25
	v_cmp_gt_i64_e32 vcc, 0, v[0:1]
	v_not_b32_e32 v0, v1
	v_ashrrev_i32_e32 v0, 31, v0
	v_xor_b32_e32 v1, vcc_hi, v0
	v_xor_b32_e32 v0, vcc_lo, v0
	v_and_b32_e32 v4, v4, v1
	v_and_b32_e32 v5, v5, v0
	;; [unrolled: 9-line block ×7, first 2 shown]
	v_mbcnt_lo_u32_b32 v2, v0, 0
	v_mbcnt_hi_u32_b32 v4, v1, v2
	v_cmp_eq_u32_e32 vcc, 0, v4
	v_cmp_ne_u64_e64 s[26:27], 0, v[0:1]
	v_mov_b64_e32 v[26:27], v[8:9]
	v_mov_b64_e32 v[28:29], v[6:7]
	;; [unrolled: 1-line block ×6, first 2 shown]
	s_and_b64 s[40:41], s[26:27], vcc
	v_add_u32_e32 v5, v34, v3
	ds_write2_b64 v11, v[20:21], v[22:23] offset0:2 offset1:3
	s_waitcnt lgkmcnt(0)
	s_barrier
	; wave barrier
	s_and_saveexec_b64 s[26:27], s[40:41]
; %bb.21:                               ;   in Loop: Header=BB0_20 Depth=1
	v_bcnt_u32_b32 v0, v0, 0
	v_bcnt_u32_b32 v0, v1, v0
	ds_write_b32 v5, v0 offset:16
; %bb.22:                               ;   in Loop: Header=BB0_20 Depth=1
	s_or_b64 exec, exec, s[26:27]
	s_not_b32 s37, s37
	v_lshrrev_b64 v[0:1], s34, v[30:31]
	v_and_b32_e32 v2, s37, v0
	v_lshlrev_b32_e32 v0, 4, v2
	v_and_b32_e32 v24, 1, v2
	v_add_u32_e32 v7, v34, v0
	v_lshl_add_u64 v[0:1], v[24:25], 0, -1
	v_cmp_ne_u32_e32 vcc, 0, v24
	; wave barrier
	s_nop 1
	v_xor_b32_e32 v1, vcc_hi, v1
	v_xor_b32_e32 v0, vcc_lo, v0
	v_and_b32_e32 v3, exec_hi, v1
	v_and_b32_e32 v8, exec_lo, v0
	v_lshlrev_b32_e32 v1, 30, v2
	v_mov_b32_e32 v0, v25
	v_cmp_gt_i64_e32 vcc, 0, v[0:1]
	v_not_b32_e32 v0, v1
	v_ashrrev_i32_e32 v0, 31, v0
	v_xor_b32_e32 v1, vcc_hi, v0
	v_xor_b32_e32 v0, vcc_lo, v0
	v_and_b32_e32 v3, v3, v1
	v_and_b32_e32 v8, v8, v0
	v_lshlrev_b32_e32 v1, 29, v2
	v_mov_b32_e32 v0, v25
	v_cmp_gt_i64_e32 vcc, 0, v[0:1]
	v_not_b32_e32 v0, v1
	v_ashrrev_i32_e32 v0, 31, v0
	v_xor_b32_e32 v1, vcc_hi, v0
	v_xor_b32_e32 v0, vcc_lo, v0
	v_and_b32_e32 v3, v3, v1
	v_and_b32_e32 v8, v8, v0
	;; [unrolled: 9-line block ×6, first 2 shown]
	v_lshlrev_b32_e32 v1, 24, v2
	v_mov_b32_e32 v0, v25
	v_cmp_gt_i64_e32 vcc, 0, v[0:1]
	v_not_b32_e32 v0, v1
	v_ashrrev_i32_e32 v0, 31, v0
	v_xor_b32_e32 v1, vcc_hi, v0
	v_xor_b32_e32 v0, vcc_lo, v0
	ds_read_b32 v6, v7 offset:16
	v_and_b32_e32 v0, v8, v0
	v_and_b32_e32 v1, v3, v1
	v_mbcnt_lo_u32_b32 v2, v0, 0
	v_mbcnt_hi_u32_b32 v8, v1, v2
	v_cmp_eq_u32_e32 vcc, 0, v8
	v_cmp_ne_u64_e64 s[26:27], 0, v[0:1]
	s_and_b64 s[40:41], s[26:27], vcc
	; wave barrier
	s_and_saveexec_b64 s[26:27], s[40:41]
	s_cbranch_execz .LBB0_24
; %bb.23:                               ;   in Loop: Header=BB0_20 Depth=1
	v_bcnt_u32_b32 v0, v0, 0
	v_bcnt_u32_b32 v0, v1, v0
	s_waitcnt lgkmcnt(0)
	v_add_u32_e32 v0, v6, v0
	ds_write_b32 v7, v0 offset:16
.LBB0_24:                               ;   in Loop: Header=BB0_20 Depth=1
	s_or_b64 exec, exec, s[26:27]
	v_lshrrev_b64 v[0:1], s34, v[28:29]
	v_and_b32_e32 v2, s37, v0
	v_lshlrev_b32_e32 v0, 4, v2
	v_and_b32_e32 v24, 1, v2
	v_add_u32_e32 v40, v34, v0
	v_lshl_add_u64 v[0:1], v[24:25], 0, -1
	v_cmp_ne_u32_e32 vcc, 0, v24
	; wave barrier
	s_nop 1
	v_xor_b32_e32 v1, vcc_hi, v1
	v_xor_b32_e32 v0, vcc_lo, v0
	v_and_b32_e32 v3, exec_hi, v1
	v_and_b32_e32 v24, exec_lo, v0
	v_lshlrev_b32_e32 v1, 30, v2
	v_mov_b32_e32 v0, v25
	v_cmp_gt_i64_e32 vcc, 0, v[0:1]
	v_not_b32_e32 v0, v1
	v_ashrrev_i32_e32 v0, 31, v0
	v_xor_b32_e32 v1, vcc_hi, v0
	v_xor_b32_e32 v0, vcc_lo, v0
	v_and_b32_e32 v3, v3, v1
	v_and_b32_e32 v24, v24, v0
	v_lshlrev_b32_e32 v1, 29, v2
	v_mov_b32_e32 v0, v25
	v_cmp_gt_i64_e32 vcc, 0, v[0:1]
	v_not_b32_e32 v0, v1
	v_ashrrev_i32_e32 v0, 31, v0
	v_xor_b32_e32 v1, vcc_hi, v0
	v_xor_b32_e32 v0, vcc_lo, v0
	v_and_b32_e32 v3, v3, v1
	v_and_b32_e32 v24, v24, v0
	;; [unrolled: 9-line block ×6, first 2 shown]
	v_lshlrev_b32_e32 v1, 24, v2
	v_mov_b32_e32 v0, v25
	v_cmp_gt_i64_e32 vcc, 0, v[0:1]
	v_not_b32_e32 v0, v1
	v_ashrrev_i32_e32 v0, 31, v0
	v_xor_b32_e32 v1, vcc_hi, v0
	v_xor_b32_e32 v0, vcc_lo, v0
	ds_read_b32 v9, v40 offset:16
	v_and_b32_e32 v0, v24, v0
	v_and_b32_e32 v1, v3, v1
	v_mbcnt_lo_u32_b32 v2, v0, 0
	v_mbcnt_hi_u32_b32 v41, v1, v2
	v_cmp_eq_u32_e32 vcc, 0, v41
	v_cmp_ne_u64_e64 s[26:27], 0, v[0:1]
	s_and_b64 s[40:41], s[26:27], vcc
	; wave barrier
	s_and_saveexec_b64 s[26:27], s[40:41]
	s_cbranch_execz .LBB0_26
; %bb.25:                               ;   in Loop: Header=BB0_20 Depth=1
	v_bcnt_u32_b32 v0, v0, 0
	v_bcnt_u32_b32 v0, v1, v0
	s_waitcnt lgkmcnt(0)
	v_add_u32_e32 v0, v9, v0
	ds_write_b32 v40, v0 offset:16
.LBB0_26:                               ;   in Loop: Header=BB0_20 Depth=1
	s_or_b64 exec, exec, s[26:27]
	v_lshrrev_b64 v[0:1], s34, v[26:27]
	v_and_b32_e32 v2, s37, v0
	v_lshlrev_b32_e32 v0, 4, v2
	v_and_b32_e32 v24, 1, v2
	v_add_u32_e32 v43, v34, v0
	v_lshl_add_u64 v[0:1], v[24:25], 0, -1
	v_cmp_ne_u32_e32 vcc, 0, v24
	; wave barrier
	s_nop 1
	v_xor_b32_e32 v1, vcc_hi, v1
	v_xor_b32_e32 v0, vcc_lo, v0
	v_and_b32_e32 v3, exec_hi, v1
	v_and_b32_e32 v24, exec_lo, v0
	v_lshlrev_b32_e32 v1, 30, v2
	v_mov_b32_e32 v0, v25
	v_cmp_gt_i64_e32 vcc, 0, v[0:1]
	v_not_b32_e32 v0, v1
	v_ashrrev_i32_e32 v0, 31, v0
	v_xor_b32_e32 v1, vcc_hi, v0
	v_xor_b32_e32 v0, vcc_lo, v0
	v_and_b32_e32 v3, v3, v1
	v_and_b32_e32 v24, v24, v0
	v_lshlrev_b32_e32 v1, 29, v2
	v_mov_b32_e32 v0, v25
	v_cmp_gt_i64_e32 vcc, 0, v[0:1]
	v_not_b32_e32 v0, v1
	v_ashrrev_i32_e32 v0, 31, v0
	v_xor_b32_e32 v1, vcc_hi, v0
	v_xor_b32_e32 v0, vcc_lo, v0
	v_and_b32_e32 v3, v3, v1
	v_and_b32_e32 v24, v24, v0
	;; [unrolled: 9-line block ×6, first 2 shown]
	v_lshlrev_b32_e32 v1, 24, v2
	v_mov_b32_e32 v0, v25
	v_cmp_gt_i64_e32 vcc, 0, v[0:1]
	v_not_b32_e32 v0, v1
	v_ashrrev_i32_e32 v0, 31, v0
	v_xor_b32_e32 v1, vcc_hi, v0
	v_xor_b32_e32 v0, vcc_lo, v0
	ds_read_b32 v42, v43 offset:16
	v_and_b32_e32 v0, v24, v0
	v_and_b32_e32 v1, v3, v1
	v_mbcnt_lo_u32_b32 v2, v0, 0
	v_mbcnt_hi_u32_b32 v24, v1, v2
	v_cmp_eq_u32_e32 vcc, 0, v24
	v_cmp_ne_u64_e64 s[26:27], 0, v[0:1]
	s_and_b64 s[40:41], s[26:27], vcc
	; wave barrier
	s_and_saveexec_b64 s[26:27], s[40:41]
	s_cbranch_execz .LBB0_28
; %bb.27:                               ;   in Loop: Header=BB0_20 Depth=1
	v_bcnt_u32_b32 v0, v0, 0
	v_bcnt_u32_b32 v0, v1, v0
	s_waitcnt lgkmcnt(0)
	v_add_u32_e32 v0, v42, v0
	ds_write_b32 v43, v0 offset:16
.LBB0_28:                               ;   in Loop: Header=BB0_20 Depth=1
	s_or_b64 exec, exec, s[26:27]
	; wave barrier
	s_waitcnt lgkmcnt(0)
	s_barrier
	ds_read2_b64 v[0:3], v11 offset0:2 offset1:3
	s_waitcnt lgkmcnt(0)
	v_add_u32_e32 v44, v1, v0
	v_add3_u32 v3, v44, v2, v3
	s_nop 1
	v_mov_b32_dpp v44, v3 row_shr:1 row_mask:0xf bank_mask:0xf
	v_cndmask_b32_e64 v44, v44, 0, s[0:1]
	v_add_u32_e32 v3, v44, v3
	s_nop 1
	v_mov_b32_dpp v44, v3 row_shr:2 row_mask:0xf bank_mask:0xf
	v_cndmask_b32_e64 v44, 0, v44, s[2:3]
	v_add_u32_e32 v3, v3, v44
	;; [unrolled: 4-line block ×4, first 2 shown]
	s_nop 1
	v_mov_b32_dpp v44, v3 row_bcast:15 row_mask:0xf bank_mask:0xf
	v_cndmask_b32_e64 v44, v44, 0, s[8:9]
	v_add_u32_e32 v3, v3, v44
	s_nop 1
	v_mov_b32_dpp v44, v3 row_bcast:31 row_mask:0xf bank_mask:0xf
	v_cndmask_b32_e64 v44, 0, v44, s[10:11]
	v_add_u32_e32 v3, v3, v44
	s_and_saveexec_b64 s[26:27], s[12:13]
; %bb.29:                               ;   in Loop: Header=BB0_20 Depth=1
	ds_write_b32 v36, v3
; %bb.30:                               ;   in Loop: Header=BB0_20 Depth=1
	s_or_b64 exec, exec, s[26:27]
	s_waitcnt lgkmcnt(0)
	s_barrier
	s_and_saveexec_b64 s[26:27], s[14:15]
	s_cbranch_execz .LBB0_32
; %bb.31:                               ;   in Loop: Header=BB0_20 Depth=1
	ds_read_b32 v44, v39
	s_waitcnt lgkmcnt(0)
	s_nop 0
	v_mov_b32_dpp v45, v44 row_shr:1 row_mask:0xf bank_mask:0xf
	v_cndmask_b32_e64 v45, v45, 0, s[22:23]
	v_add_u32_e32 v44, v45, v44
	s_nop 1
	v_mov_b32_dpp v45, v44 row_shr:2 row_mask:0xf bank_mask:0xf
	v_cndmask_b32_e64 v45, 0, v45, s[24:25]
	v_add_u32_e32 v44, v44, v45
	ds_write_b32 v39, v44
.LBB0_32:                               ;   in Loop: Header=BB0_20 Depth=1
	s_or_b64 exec, exec, s[26:27]
	v_mov_b32_e32 v44, 0
	s_waitcnt lgkmcnt(0)
	s_barrier
	s_and_saveexec_b64 s[26:27], s[16:17]
; %bb.33:                               ;   in Loop: Header=BB0_20 Depth=1
	ds_read_b32 v44, v37
; %bb.34:                               ;   in Loop: Header=BB0_20 Depth=1
	s_or_b64 exec, exec, s[26:27]
	s_waitcnt lgkmcnt(0)
	v_add_u32_e32 v3, v44, v3
	ds_bpermute_b32 v3, v35, v3
	v_lshlrev_b32_e32 v4, 3, v4
	s_add_i32 s34, s34, 8
	s_cmp_ge_u32 s34, s36
	s_mov_b64 s[26:27], -1
	s_waitcnt lgkmcnt(0)
	v_cndmask_b32_e64 v3, v3, v44, s[18:19]
	v_cndmask_b32_e64 v44, v3, 0, s[20:21]
	v_add_u32_e32 v45, v44, v0
	v_add_u32_e32 v0, v45, v1
	;; [unrolled: 1-line block ×3, first 2 shown]
	ds_write2_b64 v11, v[44:45], v[0:1] offset0:2 offset1:3
	s_waitcnt lgkmcnt(0)
	s_barrier
	ds_read_b32 v0, v5 offset:16
	ds_read_b32 v1, v7 offset:16
	;; [unrolled: 1-line block ×4, first 2 shown]
	v_lshlrev_b32_e32 v5, 3, v6
	s_waitcnt lgkmcnt(3)
	v_lshl_add_u32 v0, v0, 3, v4
	v_lshlrev_b32_e32 v4, 3, v8
	s_waitcnt lgkmcnt(2)
	v_lshlrev_b32_e32 v1, 3, v1
	v_add3_u32 v1, v4, v5, v1
	v_lshlrev_b32_e32 v4, 3, v41
	v_lshlrev_b32_e32 v5, 3, v9
	s_waitcnt lgkmcnt(1)
	v_lshlrev_b32_e32 v2, 3, v2
	v_add3_u32 v40, v4, v5, v2
	v_lshlrev_b32_e32 v2, 3, v24
	v_lshlrev_b32_e32 v4, 3, v42
	s_waitcnt lgkmcnt(0)
	v_lshlrev_b32_e32 v3, 3, v3
	v_add3_u32 v24, v2, v4, v3
                                        ; implicit-def: $vgpr8_vgpr9
                                        ; implicit-def: $vgpr4_vgpr5
                                        ; implicit-def: $vgpr42_vgpr43
                                        ; implicit-def: $vgpr46_vgpr47
	s_cbranch_scc1 .LBB0_19
; %bb.35:                               ;   in Loop: Header=BB0_20 Depth=1
	s_barrier
	ds_write_b64 v0, v[32:33]
	ds_write_b64 v1, v[30:31]
	ds_write_b64 v40, v[28:29]
	ds_write_b64 v24, v[26:27]
	s_waitcnt lgkmcnt(0)
	s_barrier
	ds_read2st64_b64 v[2:5], v38 offset1:1
	ds_read2st64_b64 v[6:9], v38 offset0:2 offset1:3
	s_waitcnt lgkmcnt(0)
	s_barrier
	ds_write_b64 v0, v[18:19]
	ds_write_b64 v1, v[16:17]
	;; [unrolled: 1-line block ×4, first 2 shown]
	s_waitcnt lgkmcnt(0)
	s_barrier
	ds_read2st64_b64 v[42:45], v38 offset1:1
	ds_read2st64_b64 v[46:49], v38 offset0:2 offset1:3
	s_add_i32 s35, s35, -8
	s_mov_b64 s[26:27], 0
	s_waitcnt lgkmcnt(0)
	s_barrier
	s_branch .LBB0_19
.LBB0_36:
	v_lshlrev_b32_e32 v8, 3, v10
	s_barrier
	ds_write_b64 v0, v[32:33]
	ds_write_b64 v1, v[30:31]
	;; [unrolled: 1-line block ×4, first 2 shown]
	s_waitcnt lgkmcnt(0)
	s_barrier
	ds_read2st64_b64 v[20:23], v8 offset1:4
	ds_read2st64_b64 v[26:29], v8 offset0:8 offset1:12
	s_waitcnt lgkmcnt(0)
	s_barrier
	ds_write_b64 v0, v[18:19]
	ds_write_b64 v1, v[16:17]
	;; [unrolled: 1-line block ×4, first 2 shown]
	s_waitcnt lgkmcnt(0)
	s_barrier
	ds_read2st64_b64 v[4:7], v8 offset1:4
	ds_read2st64_b64 v[0:3], v8 offset0:8 offset1:12
	s_add_u32 s0, s38, s28
	s_addc_u32 s1, s39, s29
	v_mov_b32_e32 v9, 0
	v_not_b32_e32 v21, v21
	v_not_b32_e32 v20, v20
	;; [unrolled: 1-line block ×8, first 2 shown]
	s_andn2_b64 vcc, exec, s[30:31]
	v_lshl_add_u64 v[16:17], s[0:1], 0, v[8:9]
	s_cbranch_vccnz .LBB0_38
; %bb.37:
	v_add_co_u32_e32 v22, vcc, 0x1000, v16
	s_add_u32 s0, s42, s28
	s_nop 0
	v_addc_co_u32_e32 v23, vcc, 0, v17, vcc
	s_addc_u32 s1, s43, s29
	global_store_dwordx2 v[16:17], v[20:21], off
	global_store_dwordx2 v[16:17], v[18:19], off offset:2048
	global_store_dwordx2 v[22:23], v[14:15], off
	global_store_dwordx2 v[22:23], v[12:13], off offset:2048
	v_lshl_add_u64 v[22:23], s[0:1], 0, v[8:9]
	v_add_co_u32_e32 v22, vcc, 0x1000, v22
	s_waitcnt lgkmcnt(1)
	global_store_dwordx2 v8, v[4:5], s[0:1]
	global_store_dwordx2 v8, v[6:7], s[0:1] offset:2048
	v_addc_co_u32_e32 v23, vcc, 0, v23, vcc
	s_mov_b64 s[6:7], -1
	s_waitcnt lgkmcnt(0)
	global_store_dwordx2 v[22:23], v[0:1], off
	s_cbranch_execz .LBB0_39
	s_branch .LBB0_52
.LBB0_38:
	s_mov_b64 s[6:7], 0
.LBB0_39:
	v_cmp_gt_u32_e64 s[0:1], s33, v10
	s_and_saveexec_b64 s[2:3], s[0:1]
	s_cbranch_execz .LBB0_41
; %bb.40:
	global_store_dwordx2 v[16:17], v[20:21], off
.LBB0_41:
	s_or_b64 exec, exec, s[2:3]
	v_add_u32_e32 v9, 0x100, v10
	v_cmp_gt_u32_e64 s[2:3], s33, v9
	s_and_saveexec_b64 s[4:5], s[2:3]
	s_cbranch_execz .LBB0_43
; %bb.42:
	global_store_dwordx2 v[16:17], v[18:19], off offset:2048
.LBB0_43:
	s_or_b64 exec, exec, s[4:5]
	v_add_u32_e32 v9, 0x200, v10
	v_cmp_gt_u32_e64 s[4:5], s33, v9
	s_and_saveexec_b64 s[6:7], s[4:5]
	s_cbranch_execz .LBB0_45
; %bb.44:
	v_add_co_u32_e32 v18, vcc, 0x1000, v16
	s_nop 1
	v_addc_co_u32_e32 v19, vcc, 0, v17, vcc
	global_store_dwordx2 v[18:19], v[14:15], off
.LBB0_45:
	s_or_b64 exec, exec, s[6:7]
	v_add_u32_e32 v9, 0x300, v10
	v_cmp_gt_u32_e64 s[6:7], s33, v9
	s_and_saveexec_b64 s[8:9], s[6:7]
	s_cbranch_execz .LBB0_47
; %bb.46:
	v_add_co_u32_e32 v10, vcc, 0x1000, v16
	s_nop 1
	v_addc_co_u32_e32 v11, vcc, 0, v17, vcc
	global_store_dwordx2 v[10:11], v[12:13], off offset:2048
.LBB0_47:
	s_or_b64 exec, exec, s[8:9]
	s_add_u32 s8, s42, s28
	s_addc_u32 s9, s43, s29
	v_mov_b32_e32 v9, 0
	v_lshl_add_u64 v[10:11], s[8:9], 0, v[8:9]
	s_and_saveexec_b64 s[8:9], s[0:1]
	s_cbranch_execnz .LBB0_57
; %bb.48:
	s_or_b64 exec, exec, s[8:9]
	s_and_saveexec_b64 s[0:1], s[2:3]
	s_cbranch_execnz .LBB0_58
.LBB0_49:
	s_or_b64 exec, exec, s[0:1]
	s_and_saveexec_b64 s[0:1], s[4:5]
	s_cbranch_execz .LBB0_51
.LBB0_50:
	s_waitcnt lgkmcnt(1)
	v_add_co_u32_e32 v4, vcc, 0x1000, v10
	s_nop 1
	v_addc_co_u32_e32 v5, vcc, 0, v11, vcc
	s_waitcnt lgkmcnt(0)
	global_store_dwordx2 v[4:5], v[0:1], off
.LBB0_51:
	s_or_b64 exec, exec, s[0:1]
.LBB0_52:
	s_and_saveexec_b64 s[0:1], s[6:7]
	s_cbranch_execnz .LBB0_54
; %bb.53:
	s_endpgm
.LBB0_54:
	s_add_u32 s0, s42, s28
	s_addc_u32 s1, s43, s29
	v_mov_b32_e32 v9, 0
	s_waitcnt lgkmcnt(0)
	v_lshl_add_u64 v[0:1], s[0:1], 0, v[8:9]
	v_add_co_u32_e32 v0, vcc, 0x1000, v0
	s_nop 1
	v_addc_co_u32_e32 v1, vcc, 0, v1, vcc
	global_store_dwordx2 v[0:1], v[2:3], off offset:2048
	s_endpgm
.LBB0_55:
	global_load_dwordx2 v[42:43], v[16:17], off
	s_or_b64 exec, exec, s[8:9]
	s_and_saveexec_b64 s[8:9], s[2:3]
	s_cbranch_execz .LBB0_13
.LBB0_56:
	global_load_dwordx2 v[44:45], v[16:17], off offset:512
	s_or_b64 exec, exec, s[8:9]
                                        ; implicit-def: $vgpr46_vgpr47
	s_and_saveexec_b64 s[2:3], s[4:5]
	s_cbranch_execnz .LBB0_14
	s_branch .LBB0_15
.LBB0_57:
	s_waitcnt lgkmcnt(1)
	global_store_dwordx2 v[10:11], v[4:5], off
	s_or_b64 exec, exec, s[8:9]
	s_and_saveexec_b64 s[0:1], s[2:3]
	s_cbranch_execz .LBB0_49
.LBB0_58:
	s_waitcnt lgkmcnt(1)
	global_store_dwordx2 v[10:11], v[6:7], off offset:2048
	s_or_b64 exec, exec, s[0:1]
	s_and_saveexec_b64 s[0:1], s[4:5]
	s_cbranch_execnz .LBB0_50
	s_branch .LBB0_51
	.section	.rodata,"a",@progbits
	.p2align	6, 0x0
	.amdhsa_kernel _ZN7rocprim17ROCPRIM_304000_NS6detail28radix_sort_block_sort_kernelINS1_36wrapped_radix_sort_block_sort_configINS0_13kernel_configILj256ELj4ELj4294967295EEEmN2at4cuda3cub6detail10OpaqueTypeILi8EEEEELb1EPKmPmPKSB_PSB_NS0_19identity_decomposerEEEvT1_T2_T3_T4_jT5_jj
		.amdhsa_group_segment_fixed_size 8192
		.amdhsa_private_segment_fixed_size 0
		.amdhsa_kernarg_size 304
		.amdhsa_user_sgpr_count 2
		.amdhsa_user_sgpr_dispatch_ptr 0
		.amdhsa_user_sgpr_queue_ptr 0
		.amdhsa_user_sgpr_kernarg_segment_ptr 1
		.amdhsa_user_sgpr_dispatch_id 0
		.amdhsa_user_sgpr_kernarg_preload_length 0
		.amdhsa_user_sgpr_kernarg_preload_offset 0
		.amdhsa_user_sgpr_private_segment_size 0
		.amdhsa_uses_dynamic_stack 0
		.amdhsa_enable_private_segment 0
		.amdhsa_system_sgpr_workgroup_id_x 1
		.amdhsa_system_sgpr_workgroup_id_y 0
		.amdhsa_system_sgpr_workgroup_id_z 0
		.amdhsa_system_sgpr_workgroup_info 0
		.amdhsa_system_vgpr_workitem_id 2
		.amdhsa_next_free_vgpr 50
		.amdhsa_next_free_sgpr 44
		.amdhsa_accum_offset 52
		.amdhsa_reserve_vcc 1
		.amdhsa_float_round_mode_32 0
		.amdhsa_float_round_mode_16_64 0
		.amdhsa_float_denorm_mode_32 3
		.amdhsa_float_denorm_mode_16_64 3
		.amdhsa_dx10_clamp 1
		.amdhsa_ieee_mode 1
		.amdhsa_fp16_overflow 0
		.amdhsa_tg_split 0
		.amdhsa_exception_fp_ieee_invalid_op 0
		.amdhsa_exception_fp_denorm_src 0
		.amdhsa_exception_fp_ieee_div_zero 0
		.amdhsa_exception_fp_ieee_overflow 0
		.amdhsa_exception_fp_ieee_underflow 0
		.amdhsa_exception_fp_ieee_inexact 0
		.amdhsa_exception_int_div_zero 0
	.end_amdhsa_kernel
	.section	.text._ZN7rocprim17ROCPRIM_304000_NS6detail28radix_sort_block_sort_kernelINS1_36wrapped_radix_sort_block_sort_configINS0_13kernel_configILj256ELj4ELj4294967295EEEmN2at4cuda3cub6detail10OpaqueTypeILi8EEEEELb1EPKmPmPKSB_PSB_NS0_19identity_decomposerEEEvT1_T2_T3_T4_jT5_jj,"axG",@progbits,_ZN7rocprim17ROCPRIM_304000_NS6detail28radix_sort_block_sort_kernelINS1_36wrapped_radix_sort_block_sort_configINS0_13kernel_configILj256ELj4ELj4294967295EEEmN2at4cuda3cub6detail10OpaqueTypeILi8EEEEELb1EPKmPmPKSB_PSB_NS0_19identity_decomposerEEEvT1_T2_T3_T4_jT5_jj,comdat
.Lfunc_end0:
	.size	_ZN7rocprim17ROCPRIM_304000_NS6detail28radix_sort_block_sort_kernelINS1_36wrapped_radix_sort_block_sort_configINS0_13kernel_configILj256ELj4ELj4294967295EEEmN2at4cuda3cub6detail10OpaqueTypeILi8EEEEELb1EPKmPmPKSB_PSB_NS0_19identity_decomposerEEEvT1_T2_T3_T4_jT5_jj, .Lfunc_end0-_ZN7rocprim17ROCPRIM_304000_NS6detail28radix_sort_block_sort_kernelINS1_36wrapped_radix_sort_block_sort_configINS0_13kernel_configILj256ELj4ELj4294967295EEEmN2at4cuda3cub6detail10OpaqueTypeILi8EEEEELb1EPKmPmPKSB_PSB_NS0_19identity_decomposerEEEvT1_T2_T3_T4_jT5_jj
                                        ; -- End function
	.set _ZN7rocprim17ROCPRIM_304000_NS6detail28radix_sort_block_sort_kernelINS1_36wrapped_radix_sort_block_sort_configINS0_13kernel_configILj256ELj4ELj4294967295EEEmN2at4cuda3cub6detail10OpaqueTypeILi8EEEEELb1EPKmPmPKSB_PSB_NS0_19identity_decomposerEEEvT1_T2_T3_T4_jT5_jj.num_vgpr, 50
	.set _ZN7rocprim17ROCPRIM_304000_NS6detail28radix_sort_block_sort_kernelINS1_36wrapped_radix_sort_block_sort_configINS0_13kernel_configILj256ELj4ELj4294967295EEEmN2at4cuda3cub6detail10OpaqueTypeILi8EEEEELb1EPKmPmPKSB_PSB_NS0_19identity_decomposerEEEvT1_T2_T3_T4_jT5_jj.num_agpr, 0
	.set _ZN7rocprim17ROCPRIM_304000_NS6detail28radix_sort_block_sort_kernelINS1_36wrapped_radix_sort_block_sort_configINS0_13kernel_configILj256ELj4ELj4294967295EEEmN2at4cuda3cub6detail10OpaqueTypeILi8EEEEELb1EPKmPmPKSB_PSB_NS0_19identity_decomposerEEEvT1_T2_T3_T4_jT5_jj.numbered_sgpr, 44
	.set _ZN7rocprim17ROCPRIM_304000_NS6detail28radix_sort_block_sort_kernelINS1_36wrapped_radix_sort_block_sort_configINS0_13kernel_configILj256ELj4ELj4294967295EEEmN2at4cuda3cub6detail10OpaqueTypeILi8EEEEELb1EPKmPmPKSB_PSB_NS0_19identity_decomposerEEEvT1_T2_T3_T4_jT5_jj.num_named_barrier, 0
	.set _ZN7rocprim17ROCPRIM_304000_NS6detail28radix_sort_block_sort_kernelINS1_36wrapped_radix_sort_block_sort_configINS0_13kernel_configILj256ELj4ELj4294967295EEEmN2at4cuda3cub6detail10OpaqueTypeILi8EEEEELb1EPKmPmPKSB_PSB_NS0_19identity_decomposerEEEvT1_T2_T3_T4_jT5_jj.private_seg_size, 0
	.set _ZN7rocprim17ROCPRIM_304000_NS6detail28radix_sort_block_sort_kernelINS1_36wrapped_radix_sort_block_sort_configINS0_13kernel_configILj256ELj4ELj4294967295EEEmN2at4cuda3cub6detail10OpaqueTypeILi8EEEEELb1EPKmPmPKSB_PSB_NS0_19identity_decomposerEEEvT1_T2_T3_T4_jT5_jj.uses_vcc, 1
	.set _ZN7rocprim17ROCPRIM_304000_NS6detail28radix_sort_block_sort_kernelINS1_36wrapped_radix_sort_block_sort_configINS0_13kernel_configILj256ELj4ELj4294967295EEEmN2at4cuda3cub6detail10OpaqueTypeILi8EEEEELb1EPKmPmPKSB_PSB_NS0_19identity_decomposerEEEvT1_T2_T3_T4_jT5_jj.uses_flat_scratch, 0
	.set _ZN7rocprim17ROCPRIM_304000_NS6detail28radix_sort_block_sort_kernelINS1_36wrapped_radix_sort_block_sort_configINS0_13kernel_configILj256ELj4ELj4294967295EEEmN2at4cuda3cub6detail10OpaqueTypeILi8EEEEELb1EPKmPmPKSB_PSB_NS0_19identity_decomposerEEEvT1_T2_T3_T4_jT5_jj.has_dyn_sized_stack, 0
	.set _ZN7rocprim17ROCPRIM_304000_NS6detail28radix_sort_block_sort_kernelINS1_36wrapped_radix_sort_block_sort_configINS0_13kernel_configILj256ELj4ELj4294967295EEEmN2at4cuda3cub6detail10OpaqueTypeILi8EEEEELb1EPKmPmPKSB_PSB_NS0_19identity_decomposerEEEvT1_T2_T3_T4_jT5_jj.has_recursion, 0
	.set _ZN7rocprim17ROCPRIM_304000_NS6detail28radix_sort_block_sort_kernelINS1_36wrapped_radix_sort_block_sort_configINS0_13kernel_configILj256ELj4ELj4294967295EEEmN2at4cuda3cub6detail10OpaqueTypeILi8EEEEELb1EPKmPmPKSB_PSB_NS0_19identity_decomposerEEEvT1_T2_T3_T4_jT5_jj.has_indirect_call, 0
	.section	.AMDGPU.csdata,"",@progbits
; Kernel info:
; codeLenInByte = 3916
; TotalNumSgprs: 50
; NumVgprs: 50
; NumAgprs: 0
; TotalNumVgprs: 50
; ScratchSize: 0
; MemoryBound: 1
; FloatMode: 240
; IeeeMode: 1
; LDSByteSize: 8192 bytes/workgroup (compile time only)
; SGPRBlocks: 6
; VGPRBlocks: 6
; NumSGPRsForWavesPerEU: 50
; NumVGPRsForWavesPerEU: 50
; AccumOffset: 52
; Occupancy: 8
; WaveLimiterHint : 1
; COMPUTE_PGM_RSRC2:SCRATCH_EN: 0
; COMPUTE_PGM_RSRC2:USER_SGPR: 2
; COMPUTE_PGM_RSRC2:TRAP_HANDLER: 0
; COMPUTE_PGM_RSRC2:TGID_X_EN: 1
; COMPUTE_PGM_RSRC2:TGID_Y_EN: 0
; COMPUTE_PGM_RSRC2:TGID_Z_EN: 0
; COMPUTE_PGM_RSRC2:TIDIG_COMP_CNT: 2
; COMPUTE_PGM_RSRC3_GFX90A:ACCUM_OFFSET: 12
; COMPUTE_PGM_RSRC3_GFX90A:TG_SPLIT: 0
	.section	.text._ZN7rocprim17ROCPRIM_304000_NS6detail39device_merge_sort_compile_time_verifierINS1_36wrapped_merge_sort_block_sort_configINS1_28merge_sort_block_sort_configILj256ELj4ELNS0_20block_sort_algorithmE0EEEmN2at4cuda3cub6detail10OpaqueTypeILi8EEEEENS1_37wrapped_merge_sort_block_merge_configINS0_14default_configEmSC_EEEEvv,"axG",@progbits,_ZN7rocprim17ROCPRIM_304000_NS6detail39device_merge_sort_compile_time_verifierINS1_36wrapped_merge_sort_block_sort_configINS1_28merge_sort_block_sort_configILj256ELj4ELNS0_20block_sort_algorithmE0EEEmN2at4cuda3cub6detail10OpaqueTypeILi8EEEEENS1_37wrapped_merge_sort_block_merge_configINS0_14default_configEmSC_EEEEvv,comdat
	.protected	_ZN7rocprim17ROCPRIM_304000_NS6detail39device_merge_sort_compile_time_verifierINS1_36wrapped_merge_sort_block_sort_configINS1_28merge_sort_block_sort_configILj256ELj4ELNS0_20block_sort_algorithmE0EEEmN2at4cuda3cub6detail10OpaqueTypeILi8EEEEENS1_37wrapped_merge_sort_block_merge_configINS0_14default_configEmSC_EEEEvv ; -- Begin function _ZN7rocprim17ROCPRIM_304000_NS6detail39device_merge_sort_compile_time_verifierINS1_36wrapped_merge_sort_block_sort_configINS1_28merge_sort_block_sort_configILj256ELj4ELNS0_20block_sort_algorithmE0EEEmN2at4cuda3cub6detail10OpaqueTypeILi8EEEEENS1_37wrapped_merge_sort_block_merge_configINS0_14default_configEmSC_EEEEvv
	.globl	_ZN7rocprim17ROCPRIM_304000_NS6detail39device_merge_sort_compile_time_verifierINS1_36wrapped_merge_sort_block_sort_configINS1_28merge_sort_block_sort_configILj256ELj4ELNS0_20block_sort_algorithmE0EEEmN2at4cuda3cub6detail10OpaqueTypeILi8EEEEENS1_37wrapped_merge_sort_block_merge_configINS0_14default_configEmSC_EEEEvv
	.p2align	8
	.type	_ZN7rocprim17ROCPRIM_304000_NS6detail39device_merge_sort_compile_time_verifierINS1_36wrapped_merge_sort_block_sort_configINS1_28merge_sort_block_sort_configILj256ELj4ELNS0_20block_sort_algorithmE0EEEmN2at4cuda3cub6detail10OpaqueTypeILi8EEEEENS1_37wrapped_merge_sort_block_merge_configINS0_14default_configEmSC_EEEEvv,@function
_ZN7rocprim17ROCPRIM_304000_NS6detail39device_merge_sort_compile_time_verifierINS1_36wrapped_merge_sort_block_sort_configINS1_28merge_sort_block_sort_configILj256ELj4ELNS0_20block_sort_algorithmE0EEEmN2at4cuda3cub6detail10OpaqueTypeILi8EEEEENS1_37wrapped_merge_sort_block_merge_configINS0_14default_configEmSC_EEEEvv: ; @_ZN7rocprim17ROCPRIM_304000_NS6detail39device_merge_sort_compile_time_verifierINS1_36wrapped_merge_sort_block_sort_configINS1_28merge_sort_block_sort_configILj256ELj4ELNS0_20block_sort_algorithmE0EEEmN2at4cuda3cub6detail10OpaqueTypeILi8EEEEENS1_37wrapped_merge_sort_block_merge_configINS0_14default_configEmSC_EEEEvv
; %bb.0:
	s_endpgm
	.section	.rodata,"a",@progbits
	.p2align	6, 0x0
	.amdhsa_kernel _ZN7rocprim17ROCPRIM_304000_NS6detail39device_merge_sort_compile_time_verifierINS1_36wrapped_merge_sort_block_sort_configINS1_28merge_sort_block_sort_configILj256ELj4ELNS0_20block_sort_algorithmE0EEEmN2at4cuda3cub6detail10OpaqueTypeILi8EEEEENS1_37wrapped_merge_sort_block_merge_configINS0_14default_configEmSC_EEEEvv
		.amdhsa_group_segment_fixed_size 0
		.amdhsa_private_segment_fixed_size 0
		.amdhsa_kernarg_size 0
		.amdhsa_user_sgpr_count 0
		.amdhsa_user_sgpr_dispatch_ptr 0
		.amdhsa_user_sgpr_queue_ptr 0
		.amdhsa_user_sgpr_kernarg_segment_ptr 0
		.amdhsa_user_sgpr_dispatch_id 0
		.amdhsa_user_sgpr_kernarg_preload_length 0
		.amdhsa_user_sgpr_kernarg_preload_offset 0
		.amdhsa_user_sgpr_private_segment_size 0
		.amdhsa_uses_dynamic_stack 0
		.amdhsa_enable_private_segment 0
		.amdhsa_system_sgpr_workgroup_id_x 1
		.amdhsa_system_sgpr_workgroup_id_y 0
		.amdhsa_system_sgpr_workgroup_id_z 0
		.amdhsa_system_sgpr_workgroup_info 0
		.amdhsa_system_vgpr_workitem_id 0
		.amdhsa_next_free_vgpr 1
		.amdhsa_next_free_sgpr 0
		.amdhsa_accum_offset 4
		.amdhsa_reserve_vcc 0
		.amdhsa_float_round_mode_32 0
		.amdhsa_float_round_mode_16_64 0
		.amdhsa_float_denorm_mode_32 3
		.amdhsa_float_denorm_mode_16_64 3
		.amdhsa_dx10_clamp 1
		.amdhsa_ieee_mode 1
		.amdhsa_fp16_overflow 0
		.amdhsa_tg_split 0
		.amdhsa_exception_fp_ieee_invalid_op 0
		.amdhsa_exception_fp_denorm_src 0
		.amdhsa_exception_fp_ieee_div_zero 0
		.amdhsa_exception_fp_ieee_overflow 0
		.amdhsa_exception_fp_ieee_underflow 0
		.amdhsa_exception_fp_ieee_inexact 0
		.amdhsa_exception_int_div_zero 0
	.end_amdhsa_kernel
	.section	.text._ZN7rocprim17ROCPRIM_304000_NS6detail39device_merge_sort_compile_time_verifierINS1_36wrapped_merge_sort_block_sort_configINS1_28merge_sort_block_sort_configILj256ELj4ELNS0_20block_sort_algorithmE0EEEmN2at4cuda3cub6detail10OpaqueTypeILi8EEEEENS1_37wrapped_merge_sort_block_merge_configINS0_14default_configEmSC_EEEEvv,"axG",@progbits,_ZN7rocprim17ROCPRIM_304000_NS6detail39device_merge_sort_compile_time_verifierINS1_36wrapped_merge_sort_block_sort_configINS1_28merge_sort_block_sort_configILj256ELj4ELNS0_20block_sort_algorithmE0EEEmN2at4cuda3cub6detail10OpaqueTypeILi8EEEEENS1_37wrapped_merge_sort_block_merge_configINS0_14default_configEmSC_EEEEvv,comdat
.Lfunc_end1:
	.size	_ZN7rocprim17ROCPRIM_304000_NS6detail39device_merge_sort_compile_time_verifierINS1_36wrapped_merge_sort_block_sort_configINS1_28merge_sort_block_sort_configILj256ELj4ELNS0_20block_sort_algorithmE0EEEmN2at4cuda3cub6detail10OpaqueTypeILi8EEEEENS1_37wrapped_merge_sort_block_merge_configINS0_14default_configEmSC_EEEEvv, .Lfunc_end1-_ZN7rocprim17ROCPRIM_304000_NS6detail39device_merge_sort_compile_time_verifierINS1_36wrapped_merge_sort_block_sort_configINS1_28merge_sort_block_sort_configILj256ELj4ELNS0_20block_sort_algorithmE0EEEmN2at4cuda3cub6detail10OpaqueTypeILi8EEEEENS1_37wrapped_merge_sort_block_merge_configINS0_14default_configEmSC_EEEEvv
                                        ; -- End function
	.set _ZN7rocprim17ROCPRIM_304000_NS6detail39device_merge_sort_compile_time_verifierINS1_36wrapped_merge_sort_block_sort_configINS1_28merge_sort_block_sort_configILj256ELj4ELNS0_20block_sort_algorithmE0EEEmN2at4cuda3cub6detail10OpaqueTypeILi8EEEEENS1_37wrapped_merge_sort_block_merge_configINS0_14default_configEmSC_EEEEvv.num_vgpr, 0
	.set _ZN7rocprim17ROCPRIM_304000_NS6detail39device_merge_sort_compile_time_verifierINS1_36wrapped_merge_sort_block_sort_configINS1_28merge_sort_block_sort_configILj256ELj4ELNS0_20block_sort_algorithmE0EEEmN2at4cuda3cub6detail10OpaqueTypeILi8EEEEENS1_37wrapped_merge_sort_block_merge_configINS0_14default_configEmSC_EEEEvv.num_agpr, 0
	.set _ZN7rocprim17ROCPRIM_304000_NS6detail39device_merge_sort_compile_time_verifierINS1_36wrapped_merge_sort_block_sort_configINS1_28merge_sort_block_sort_configILj256ELj4ELNS0_20block_sort_algorithmE0EEEmN2at4cuda3cub6detail10OpaqueTypeILi8EEEEENS1_37wrapped_merge_sort_block_merge_configINS0_14default_configEmSC_EEEEvv.numbered_sgpr, 0
	.set _ZN7rocprim17ROCPRIM_304000_NS6detail39device_merge_sort_compile_time_verifierINS1_36wrapped_merge_sort_block_sort_configINS1_28merge_sort_block_sort_configILj256ELj4ELNS0_20block_sort_algorithmE0EEEmN2at4cuda3cub6detail10OpaqueTypeILi8EEEEENS1_37wrapped_merge_sort_block_merge_configINS0_14default_configEmSC_EEEEvv.num_named_barrier, 0
	.set _ZN7rocprim17ROCPRIM_304000_NS6detail39device_merge_sort_compile_time_verifierINS1_36wrapped_merge_sort_block_sort_configINS1_28merge_sort_block_sort_configILj256ELj4ELNS0_20block_sort_algorithmE0EEEmN2at4cuda3cub6detail10OpaqueTypeILi8EEEEENS1_37wrapped_merge_sort_block_merge_configINS0_14default_configEmSC_EEEEvv.private_seg_size, 0
	.set _ZN7rocprim17ROCPRIM_304000_NS6detail39device_merge_sort_compile_time_verifierINS1_36wrapped_merge_sort_block_sort_configINS1_28merge_sort_block_sort_configILj256ELj4ELNS0_20block_sort_algorithmE0EEEmN2at4cuda3cub6detail10OpaqueTypeILi8EEEEENS1_37wrapped_merge_sort_block_merge_configINS0_14default_configEmSC_EEEEvv.uses_vcc, 0
	.set _ZN7rocprim17ROCPRIM_304000_NS6detail39device_merge_sort_compile_time_verifierINS1_36wrapped_merge_sort_block_sort_configINS1_28merge_sort_block_sort_configILj256ELj4ELNS0_20block_sort_algorithmE0EEEmN2at4cuda3cub6detail10OpaqueTypeILi8EEEEENS1_37wrapped_merge_sort_block_merge_configINS0_14default_configEmSC_EEEEvv.uses_flat_scratch, 0
	.set _ZN7rocprim17ROCPRIM_304000_NS6detail39device_merge_sort_compile_time_verifierINS1_36wrapped_merge_sort_block_sort_configINS1_28merge_sort_block_sort_configILj256ELj4ELNS0_20block_sort_algorithmE0EEEmN2at4cuda3cub6detail10OpaqueTypeILi8EEEEENS1_37wrapped_merge_sort_block_merge_configINS0_14default_configEmSC_EEEEvv.has_dyn_sized_stack, 0
	.set _ZN7rocprim17ROCPRIM_304000_NS6detail39device_merge_sort_compile_time_verifierINS1_36wrapped_merge_sort_block_sort_configINS1_28merge_sort_block_sort_configILj256ELj4ELNS0_20block_sort_algorithmE0EEEmN2at4cuda3cub6detail10OpaqueTypeILi8EEEEENS1_37wrapped_merge_sort_block_merge_configINS0_14default_configEmSC_EEEEvv.has_recursion, 0
	.set _ZN7rocprim17ROCPRIM_304000_NS6detail39device_merge_sort_compile_time_verifierINS1_36wrapped_merge_sort_block_sort_configINS1_28merge_sort_block_sort_configILj256ELj4ELNS0_20block_sort_algorithmE0EEEmN2at4cuda3cub6detail10OpaqueTypeILi8EEEEENS1_37wrapped_merge_sort_block_merge_configINS0_14default_configEmSC_EEEEvv.has_indirect_call, 0
	.section	.AMDGPU.csdata,"",@progbits
; Kernel info:
; codeLenInByte = 4
; TotalNumSgprs: 6
; NumVgprs: 0
; NumAgprs: 0
; TotalNumVgprs: 0
; ScratchSize: 0
; MemoryBound: 0
; FloatMode: 240
; IeeeMode: 1
; LDSByteSize: 0 bytes/workgroup (compile time only)
; SGPRBlocks: 0
; VGPRBlocks: 0
; NumSGPRsForWavesPerEU: 6
; NumVGPRsForWavesPerEU: 1
; AccumOffset: 4
; Occupancy: 8
; WaveLimiterHint : 0
; COMPUTE_PGM_RSRC2:SCRATCH_EN: 0
; COMPUTE_PGM_RSRC2:USER_SGPR: 0
; COMPUTE_PGM_RSRC2:TRAP_HANDLER: 0
; COMPUTE_PGM_RSRC2:TGID_X_EN: 1
; COMPUTE_PGM_RSRC2:TGID_Y_EN: 0
; COMPUTE_PGM_RSRC2:TGID_Z_EN: 0
; COMPUTE_PGM_RSRC2:TIDIG_COMP_CNT: 0
; COMPUTE_PGM_RSRC3_GFX90A:ACCUM_OFFSET: 0
; COMPUTE_PGM_RSRC3_GFX90A:TG_SPLIT: 0
	.section	.text._ZN7rocprim17ROCPRIM_304000_NS6detail45device_block_merge_mergepath_partition_kernelINS1_37wrapped_merge_sort_block_merge_configINS0_14default_configEmN2at4cuda3cub6detail10OpaqueTypeILi8EEEEEPmjNS1_19radix_merge_compareILb1ELb0EmNS0_19identity_decomposerEEEEEvT0_T1_jPSH_T2_SH_,"axG",@progbits,_ZN7rocprim17ROCPRIM_304000_NS6detail45device_block_merge_mergepath_partition_kernelINS1_37wrapped_merge_sort_block_merge_configINS0_14default_configEmN2at4cuda3cub6detail10OpaqueTypeILi8EEEEEPmjNS1_19radix_merge_compareILb1ELb0EmNS0_19identity_decomposerEEEEEvT0_T1_jPSH_T2_SH_,comdat
	.protected	_ZN7rocprim17ROCPRIM_304000_NS6detail45device_block_merge_mergepath_partition_kernelINS1_37wrapped_merge_sort_block_merge_configINS0_14default_configEmN2at4cuda3cub6detail10OpaqueTypeILi8EEEEEPmjNS1_19radix_merge_compareILb1ELb0EmNS0_19identity_decomposerEEEEEvT0_T1_jPSH_T2_SH_ ; -- Begin function _ZN7rocprim17ROCPRIM_304000_NS6detail45device_block_merge_mergepath_partition_kernelINS1_37wrapped_merge_sort_block_merge_configINS0_14default_configEmN2at4cuda3cub6detail10OpaqueTypeILi8EEEEEPmjNS1_19radix_merge_compareILb1ELb0EmNS0_19identity_decomposerEEEEEvT0_T1_jPSH_T2_SH_
	.globl	_ZN7rocprim17ROCPRIM_304000_NS6detail45device_block_merge_mergepath_partition_kernelINS1_37wrapped_merge_sort_block_merge_configINS0_14default_configEmN2at4cuda3cub6detail10OpaqueTypeILi8EEEEEPmjNS1_19radix_merge_compareILb1ELb0EmNS0_19identity_decomposerEEEEEvT0_T1_jPSH_T2_SH_
	.p2align	8
	.type	_ZN7rocprim17ROCPRIM_304000_NS6detail45device_block_merge_mergepath_partition_kernelINS1_37wrapped_merge_sort_block_merge_configINS0_14default_configEmN2at4cuda3cub6detail10OpaqueTypeILi8EEEEEPmjNS1_19radix_merge_compareILb1ELb0EmNS0_19identity_decomposerEEEEEvT0_T1_jPSH_T2_SH_,@function
_ZN7rocprim17ROCPRIM_304000_NS6detail45device_block_merge_mergepath_partition_kernelINS1_37wrapped_merge_sort_block_merge_configINS0_14default_configEmN2at4cuda3cub6detail10OpaqueTypeILi8EEEEEPmjNS1_19radix_merge_compareILb1ELb0EmNS0_19identity_decomposerEEEEEvT0_T1_jPSH_T2_SH_: ; @_ZN7rocprim17ROCPRIM_304000_NS6detail45device_block_merge_mergepath_partition_kernelINS1_37wrapped_merge_sort_block_merge_configINS0_14default_configEmN2at4cuda3cub6detail10OpaqueTypeILi8EEEEEPmjNS1_19radix_merge_compareILb1ELb0EmNS0_19identity_decomposerEEEEEvT0_T1_jPSH_T2_SH_
; %bb.0:
	s_load_dwordx2 s[4:5], s[0:1], 0x8
	v_lshl_or_b32 v0, s2, 7, v0
	s_waitcnt lgkmcnt(0)
	v_cmp_gt_u32_e32 vcc, s5, v0
	s_and_saveexec_b64 s[2:3], vcc
	s_cbranch_execz .LBB2_6
; %bb.1:
	s_load_dword s2, s[0:1], 0x1c
	s_waitcnt lgkmcnt(0)
	s_lshr_b32 s3, s2, 9
	s_and_b32 s3, s3, 0x7ffffe
	s_add_i32 s5, s3, -1
	s_sub_i32 s3, 0, s3
	v_and_b32_e32 v1, s3, v0
	v_and_b32_e32 v2, s5, v0
	v_lshlrev_b32_e32 v1, 10, v1
	v_lshlrev_b32_e32 v3, 10, v2
	v_min_u32_e32 v2, s4, v1
	v_add_u32_e32 v1, s2, v1
	v_min_u32_e32 v4, s4, v1
	v_add_u32_e32 v1, s2, v4
	v_min_u32_e32 v1, s4, v1
	v_sub_u32_e32 v5, v1, v2
	v_min_u32_e32 v10, v5, v3
	v_sub_u32_e32 v3, v4, v2
	v_sub_u32_e32 v1, v1, v4
	v_sub_u32_e64 v1, v10, v1 clamp
	v_min_u32_e32 v11, v10, v3
	v_cmp_lt_u32_e32 vcc, v1, v11
	s_and_saveexec_b64 s[2:3], vcc
	s_cbranch_execz .LBB2_5
; %bb.2:
	s_load_dwordx2 s[4:5], s[0:1], 0x0
	v_mov_b32_e32 v5, 0
	v_mov_b32_e32 v3, v5
	s_waitcnt lgkmcnt(0)
	v_lshl_add_u64 v[6:7], v[2:3], 3, s[4:5]
	v_lshl_add_u64 v[8:9], v[4:5], 3, s[4:5]
	s_mov_b64 s[4:5], 0
.LBB2_3:                                ; =>This Inner Loop Header: Depth=1
	v_add_u32_e32 v3, v11, v1
	v_lshrrev_b32_e32 v4, 1, v3
	v_mov_b32_e32 v13, v5
	v_xad_u32 v12, v4, -1, v10
	v_lshl_add_u64 v[14:15], v[4:5], 3, v[6:7]
	v_lshl_add_u64 v[12:13], v[12:13], 3, v[8:9]
	global_load_dwordx2 v[16:17], v[14:15], off
	global_load_dwordx2 v[18:19], v[12:13], off
	v_add_u32_e32 v3, 1, v4
	s_waitcnt vmcnt(0)
	v_cmp_gt_u64_e32 vcc, v[18:19], v[16:17]
	s_nop 1
	v_cndmask_b32_e32 v11, v11, v4, vcc
	v_cndmask_b32_e32 v1, v3, v1, vcc
	v_cmp_ge_u32_e32 vcc, v1, v11
	s_or_b64 s[4:5], vcc, s[4:5]
	s_andn2_b64 exec, exec, s[4:5]
	s_cbranch_execnz .LBB2_3
; %bb.4:
	s_or_b64 exec, exec, s[4:5]
.LBB2_5:
	s_or_b64 exec, exec, s[2:3]
	s_load_dwordx2 s[0:1], s[0:1], 0x10
	v_add_u32_e32 v2, v1, v2
	v_mov_b32_e32 v1, 0
	s_waitcnt lgkmcnt(0)
	v_lshl_add_u64 v[0:1], v[0:1], 2, s[0:1]
	global_store_dword v[0:1], v2, off
.LBB2_6:
	s_endpgm
	.section	.rodata,"a",@progbits
	.p2align	6, 0x0
	.amdhsa_kernel _ZN7rocprim17ROCPRIM_304000_NS6detail45device_block_merge_mergepath_partition_kernelINS1_37wrapped_merge_sort_block_merge_configINS0_14default_configEmN2at4cuda3cub6detail10OpaqueTypeILi8EEEEEPmjNS1_19radix_merge_compareILb1ELb0EmNS0_19identity_decomposerEEEEEvT0_T1_jPSH_T2_SH_
		.amdhsa_group_segment_fixed_size 0
		.amdhsa_private_segment_fixed_size 0
		.amdhsa_kernarg_size 32
		.amdhsa_user_sgpr_count 2
		.amdhsa_user_sgpr_dispatch_ptr 0
		.amdhsa_user_sgpr_queue_ptr 0
		.amdhsa_user_sgpr_kernarg_segment_ptr 1
		.amdhsa_user_sgpr_dispatch_id 0
		.amdhsa_user_sgpr_kernarg_preload_length 0
		.amdhsa_user_sgpr_kernarg_preload_offset 0
		.amdhsa_user_sgpr_private_segment_size 0
		.amdhsa_uses_dynamic_stack 0
		.amdhsa_enable_private_segment 0
		.amdhsa_system_sgpr_workgroup_id_x 1
		.amdhsa_system_sgpr_workgroup_id_y 0
		.amdhsa_system_sgpr_workgroup_id_z 0
		.amdhsa_system_sgpr_workgroup_info 0
		.amdhsa_system_vgpr_workitem_id 0
		.amdhsa_next_free_vgpr 20
		.amdhsa_next_free_sgpr 6
		.amdhsa_accum_offset 20
		.amdhsa_reserve_vcc 1
		.amdhsa_float_round_mode_32 0
		.amdhsa_float_round_mode_16_64 0
		.amdhsa_float_denorm_mode_32 3
		.amdhsa_float_denorm_mode_16_64 3
		.amdhsa_dx10_clamp 1
		.amdhsa_ieee_mode 1
		.amdhsa_fp16_overflow 0
		.amdhsa_tg_split 0
		.amdhsa_exception_fp_ieee_invalid_op 0
		.amdhsa_exception_fp_denorm_src 0
		.amdhsa_exception_fp_ieee_div_zero 0
		.amdhsa_exception_fp_ieee_overflow 0
		.amdhsa_exception_fp_ieee_underflow 0
		.amdhsa_exception_fp_ieee_inexact 0
		.amdhsa_exception_int_div_zero 0
	.end_amdhsa_kernel
	.section	.text._ZN7rocprim17ROCPRIM_304000_NS6detail45device_block_merge_mergepath_partition_kernelINS1_37wrapped_merge_sort_block_merge_configINS0_14default_configEmN2at4cuda3cub6detail10OpaqueTypeILi8EEEEEPmjNS1_19radix_merge_compareILb1ELb0EmNS0_19identity_decomposerEEEEEvT0_T1_jPSH_T2_SH_,"axG",@progbits,_ZN7rocprim17ROCPRIM_304000_NS6detail45device_block_merge_mergepath_partition_kernelINS1_37wrapped_merge_sort_block_merge_configINS0_14default_configEmN2at4cuda3cub6detail10OpaqueTypeILi8EEEEEPmjNS1_19radix_merge_compareILb1ELb0EmNS0_19identity_decomposerEEEEEvT0_T1_jPSH_T2_SH_,comdat
.Lfunc_end2:
	.size	_ZN7rocprim17ROCPRIM_304000_NS6detail45device_block_merge_mergepath_partition_kernelINS1_37wrapped_merge_sort_block_merge_configINS0_14default_configEmN2at4cuda3cub6detail10OpaqueTypeILi8EEEEEPmjNS1_19radix_merge_compareILb1ELb0EmNS0_19identity_decomposerEEEEEvT0_T1_jPSH_T2_SH_, .Lfunc_end2-_ZN7rocprim17ROCPRIM_304000_NS6detail45device_block_merge_mergepath_partition_kernelINS1_37wrapped_merge_sort_block_merge_configINS0_14default_configEmN2at4cuda3cub6detail10OpaqueTypeILi8EEEEEPmjNS1_19radix_merge_compareILb1ELb0EmNS0_19identity_decomposerEEEEEvT0_T1_jPSH_T2_SH_
                                        ; -- End function
	.set _ZN7rocprim17ROCPRIM_304000_NS6detail45device_block_merge_mergepath_partition_kernelINS1_37wrapped_merge_sort_block_merge_configINS0_14default_configEmN2at4cuda3cub6detail10OpaqueTypeILi8EEEEEPmjNS1_19radix_merge_compareILb1ELb0EmNS0_19identity_decomposerEEEEEvT0_T1_jPSH_T2_SH_.num_vgpr, 20
	.set _ZN7rocprim17ROCPRIM_304000_NS6detail45device_block_merge_mergepath_partition_kernelINS1_37wrapped_merge_sort_block_merge_configINS0_14default_configEmN2at4cuda3cub6detail10OpaqueTypeILi8EEEEEPmjNS1_19radix_merge_compareILb1ELb0EmNS0_19identity_decomposerEEEEEvT0_T1_jPSH_T2_SH_.num_agpr, 0
	.set _ZN7rocprim17ROCPRIM_304000_NS6detail45device_block_merge_mergepath_partition_kernelINS1_37wrapped_merge_sort_block_merge_configINS0_14default_configEmN2at4cuda3cub6detail10OpaqueTypeILi8EEEEEPmjNS1_19radix_merge_compareILb1ELb0EmNS0_19identity_decomposerEEEEEvT0_T1_jPSH_T2_SH_.numbered_sgpr, 6
	.set _ZN7rocprim17ROCPRIM_304000_NS6detail45device_block_merge_mergepath_partition_kernelINS1_37wrapped_merge_sort_block_merge_configINS0_14default_configEmN2at4cuda3cub6detail10OpaqueTypeILi8EEEEEPmjNS1_19radix_merge_compareILb1ELb0EmNS0_19identity_decomposerEEEEEvT0_T1_jPSH_T2_SH_.num_named_barrier, 0
	.set _ZN7rocprim17ROCPRIM_304000_NS6detail45device_block_merge_mergepath_partition_kernelINS1_37wrapped_merge_sort_block_merge_configINS0_14default_configEmN2at4cuda3cub6detail10OpaqueTypeILi8EEEEEPmjNS1_19radix_merge_compareILb1ELb0EmNS0_19identity_decomposerEEEEEvT0_T1_jPSH_T2_SH_.private_seg_size, 0
	.set _ZN7rocprim17ROCPRIM_304000_NS6detail45device_block_merge_mergepath_partition_kernelINS1_37wrapped_merge_sort_block_merge_configINS0_14default_configEmN2at4cuda3cub6detail10OpaqueTypeILi8EEEEEPmjNS1_19radix_merge_compareILb1ELb0EmNS0_19identity_decomposerEEEEEvT0_T1_jPSH_T2_SH_.uses_vcc, 1
	.set _ZN7rocprim17ROCPRIM_304000_NS6detail45device_block_merge_mergepath_partition_kernelINS1_37wrapped_merge_sort_block_merge_configINS0_14default_configEmN2at4cuda3cub6detail10OpaqueTypeILi8EEEEEPmjNS1_19radix_merge_compareILb1ELb0EmNS0_19identity_decomposerEEEEEvT0_T1_jPSH_T2_SH_.uses_flat_scratch, 0
	.set _ZN7rocprim17ROCPRIM_304000_NS6detail45device_block_merge_mergepath_partition_kernelINS1_37wrapped_merge_sort_block_merge_configINS0_14default_configEmN2at4cuda3cub6detail10OpaqueTypeILi8EEEEEPmjNS1_19radix_merge_compareILb1ELb0EmNS0_19identity_decomposerEEEEEvT0_T1_jPSH_T2_SH_.has_dyn_sized_stack, 0
	.set _ZN7rocprim17ROCPRIM_304000_NS6detail45device_block_merge_mergepath_partition_kernelINS1_37wrapped_merge_sort_block_merge_configINS0_14default_configEmN2at4cuda3cub6detail10OpaqueTypeILi8EEEEEPmjNS1_19radix_merge_compareILb1ELb0EmNS0_19identity_decomposerEEEEEvT0_T1_jPSH_T2_SH_.has_recursion, 0
	.set _ZN7rocprim17ROCPRIM_304000_NS6detail45device_block_merge_mergepath_partition_kernelINS1_37wrapped_merge_sort_block_merge_configINS0_14default_configEmN2at4cuda3cub6detail10OpaqueTypeILi8EEEEEPmjNS1_19radix_merge_compareILb1ELb0EmNS0_19identity_decomposerEEEEEvT0_T1_jPSH_T2_SH_.has_indirect_call, 0
	.section	.AMDGPU.csdata,"",@progbits
; Kernel info:
; codeLenInByte = 320
; TotalNumSgprs: 12
; NumVgprs: 20
; NumAgprs: 0
; TotalNumVgprs: 20
; ScratchSize: 0
; MemoryBound: 0
; FloatMode: 240
; IeeeMode: 1
; LDSByteSize: 0 bytes/workgroup (compile time only)
; SGPRBlocks: 1
; VGPRBlocks: 2
; NumSGPRsForWavesPerEU: 12
; NumVGPRsForWavesPerEU: 20
; AccumOffset: 20
; Occupancy: 8
; WaveLimiterHint : 0
; COMPUTE_PGM_RSRC2:SCRATCH_EN: 0
; COMPUTE_PGM_RSRC2:USER_SGPR: 2
; COMPUTE_PGM_RSRC2:TRAP_HANDLER: 0
; COMPUTE_PGM_RSRC2:TGID_X_EN: 1
; COMPUTE_PGM_RSRC2:TGID_Y_EN: 0
; COMPUTE_PGM_RSRC2:TGID_Z_EN: 0
; COMPUTE_PGM_RSRC2:TIDIG_COMP_CNT: 0
; COMPUTE_PGM_RSRC3_GFX90A:ACCUM_OFFSET: 4
; COMPUTE_PGM_RSRC3_GFX90A:TG_SPLIT: 0
	.section	.text._ZN7rocprim17ROCPRIM_304000_NS6detail35device_block_merge_mergepath_kernelINS1_37wrapped_merge_sort_block_merge_configINS0_14default_configEmN2at4cuda3cub6detail10OpaqueTypeILi8EEEEEPmSC_PSA_SD_jNS1_19radix_merge_compareILb1ELb0EmNS0_19identity_decomposerEEEEEvT0_T1_T2_T3_T4_SL_jT5_PKSL_NS1_7vsmem_tE,"axG",@progbits,_ZN7rocprim17ROCPRIM_304000_NS6detail35device_block_merge_mergepath_kernelINS1_37wrapped_merge_sort_block_merge_configINS0_14default_configEmN2at4cuda3cub6detail10OpaqueTypeILi8EEEEEPmSC_PSA_SD_jNS1_19radix_merge_compareILb1ELb0EmNS0_19identity_decomposerEEEEEvT0_T1_T2_T3_T4_SL_jT5_PKSL_NS1_7vsmem_tE,comdat
	.protected	_ZN7rocprim17ROCPRIM_304000_NS6detail35device_block_merge_mergepath_kernelINS1_37wrapped_merge_sort_block_merge_configINS0_14default_configEmN2at4cuda3cub6detail10OpaqueTypeILi8EEEEEPmSC_PSA_SD_jNS1_19radix_merge_compareILb1ELb0EmNS0_19identity_decomposerEEEEEvT0_T1_T2_T3_T4_SL_jT5_PKSL_NS1_7vsmem_tE ; -- Begin function _ZN7rocprim17ROCPRIM_304000_NS6detail35device_block_merge_mergepath_kernelINS1_37wrapped_merge_sort_block_merge_configINS0_14default_configEmN2at4cuda3cub6detail10OpaqueTypeILi8EEEEEPmSC_PSA_SD_jNS1_19radix_merge_compareILb1ELb0EmNS0_19identity_decomposerEEEEEvT0_T1_T2_T3_T4_SL_jT5_PKSL_NS1_7vsmem_tE
	.globl	_ZN7rocprim17ROCPRIM_304000_NS6detail35device_block_merge_mergepath_kernelINS1_37wrapped_merge_sort_block_merge_configINS0_14default_configEmN2at4cuda3cub6detail10OpaqueTypeILi8EEEEEPmSC_PSA_SD_jNS1_19radix_merge_compareILb1ELb0EmNS0_19identity_decomposerEEEEEvT0_T1_T2_T3_T4_SL_jT5_PKSL_NS1_7vsmem_tE
	.p2align	8
	.type	_ZN7rocprim17ROCPRIM_304000_NS6detail35device_block_merge_mergepath_kernelINS1_37wrapped_merge_sort_block_merge_configINS0_14default_configEmN2at4cuda3cub6detail10OpaqueTypeILi8EEEEEPmSC_PSA_SD_jNS1_19radix_merge_compareILb1ELb0EmNS0_19identity_decomposerEEEEEvT0_T1_T2_T3_T4_SL_jT5_PKSL_NS1_7vsmem_tE,@function
_ZN7rocprim17ROCPRIM_304000_NS6detail35device_block_merge_mergepath_kernelINS1_37wrapped_merge_sort_block_merge_configINS0_14default_configEmN2at4cuda3cub6detail10OpaqueTypeILi8EEEEEPmSC_PSA_SD_jNS1_19radix_merge_compareILb1ELb0EmNS0_19identity_decomposerEEEEEvT0_T1_T2_T3_T4_SL_jT5_PKSL_NS1_7vsmem_tE: ; @_ZN7rocprim17ROCPRIM_304000_NS6detail35device_block_merge_mergepath_kernelINS1_37wrapped_merge_sort_block_merge_configINS0_14default_configEmN2at4cuda3cub6detail10OpaqueTypeILi8EEEEEPmSC_PSA_SD_jNS1_19radix_merge_compareILb1ELb0EmNS0_19identity_decomposerEEEEEvT0_T1_T2_T3_T4_SL_jT5_PKSL_NS1_7vsmem_tE
; %bb.0:
	s_load_dwordx2 s[34:35], s[0:1], 0x40
	s_load_dwordx4 s[16:19], s[0:1], 0x20
	s_add_u32 s30, s0, 64
	s_addc_u32 s31, s1, 0
	s_waitcnt lgkmcnt(0)
	s_mul_i32 s4, s35, s4
	s_add_i32 s3, s4, s3
	s_mul_i32 s3, s3, s34
	s_add_i32 s6, s3, s2
	s_cmp_ge_u32 s6, s18
	s_cbranch_scc1 .LBB3_103
; %bb.1:
	s_load_dwordx8 s[8:15], s[0:1], 0x0
	s_load_dwordx2 s[4:5], s[0:1], 0x30
	s_lshr_b32 s35, s16, 10
	s_cmp_lg_u32 s6, s35
	s_mov_b32 s7, 0
	s_cselect_b64 s[20:21], -1, 0
	s_lshl_b64 s[0:1], s[6:7], 2
	s_waitcnt lgkmcnt(0)
	s_add_u32 s0, s4, s0
	s_addc_u32 s1, s5, s1
	s_load_dwordx2 s[22:23], s[0:1], 0x0
	s_lshr_b32 s0, s17, 9
	s_and_b32 s0, s0, 0x7ffffe
	s_sub_i32 s0, 0, s0
	s_and_b32 s1, s6, s0
	s_lshl_b32 s3, s1, 10
	s_lshl_b32 s18, s6, 10
	;; [unrolled: 1-line block ×3, first 2 shown]
	s_sub_i32 s4, s18, s3
	s_add_i32 s1, s1, s17
	s_add_i32 s4, s1, s4
	s_waitcnt lgkmcnt(0)
	s_sub_i32 s5, s4, s22
	s_sub_i32 s4, s4, s23
	s_sub_i32 s1, s1, s3
	s_min_u32 s24, s16, s5
	s_addk_i32 s4, 0x400
	s_or_b32 s0, s6, s0
	s_min_u32 s3, s16, s1
	s_add_i32 s1, s1, s17
	s_cmp_eq_u32 s0, -1
	s_cselect_b32 s0, s1, s4
	s_cselect_b32 s1, s3, s23
	s_min_u32 s0, s0, s16
	s_mov_b32 s23, s7
	s_sub_i32 s19, s1, s22
	s_sub_i32 s33, s0, s24
	s_lshl_b64 s[26:27], s[22:23], 3
	s_add_u32 s0, s8, s26
	s_mov_b32 s25, s7
	s_addc_u32 s1, s9, s27
	s_lshl_b64 s[28:29], s[24:25], 3
	s_add_u32 s4, s8, s28
	s_addc_u32 s5, s9, s29
	s_cmp_lt_u32 s2, s34
	v_mov_b32_e32 v19, 0
	s_cselect_b32 s2, 12, 18
	global_load_dword v1, v19, s[30:31] offset:14
	s_add_u32 s2, s30, s2
	s_addc_u32 s3, s31, 0
	global_load_ushort v2, v19, s[2:3]
	v_cmp_gt_u32_e32 vcc, s19, v0
	s_cmp_eq_u32 s6, s35
	v_lshlrev_b32_e32 v18, 3, v0
	s_waitcnt vmcnt(1)
	v_lshrrev_b32_e32 v3, 16, v1
	v_and_b32_e32 v1, 0xffff, v1
	v_mul_lo_u32 v1, v1, v3
	s_waitcnt vmcnt(0)
	v_mul_lo_u32 v1, v1, v2
	v_add_u32_e32 v20, v1, v0
	s_cbranch_scc1 .LBB3_3
; %bb.2:
	v_subrev_u32_e32 v4, s19, v0
	v_lshlrev_b32_e32 v4, 3, v4
	v_mov_b32_e32 v5, v19
	v_lshl_add_u64 v[2:3], s[0:1], 0, v[18:19]
	v_lshl_add_u64 v[4:5], s[4:5], 0, v[4:5]
	v_cndmask_b32_e32 v3, v5, v3, vcc
	v_cndmask_b32_e32 v2, v4, v2, vcc
	v_mov_b32_e32 v21, v19
	v_subrev_co_u32_e32 v6, vcc, s19, v20
	v_mov_b32_e32 v7, v19
	v_lshl_add_u64 v[4:5], v[20:21], 3, s[0:1]
	v_lshl_add_u64 v[6:7], v[6:7], 3, s[4:5]
	v_add_u32_e32 v8, v20, v1
	v_cndmask_b32_e32 v5, v7, v5, vcc
	v_cndmask_b32_e32 v4, v6, v4, vcc
	v_mov_b32_e32 v9, v19
	v_subrev_co_u32_e32 v10, vcc, s19, v8
	v_mov_b32_e32 v11, v19
	v_lshl_add_u64 v[6:7], v[8:9], 3, s[0:1]
	v_lshl_add_u64 v[10:11], v[10:11], 3, s[4:5]
	v_cndmask_b32_e32 v6, v10, v6, vcc
	v_add_u32_e32 v10, v8, v1
	v_cndmask_b32_e32 v7, v11, v7, vcc
	v_mov_b32_e32 v11, v19
	v_subrev_co_u32_e32 v12, vcc, s19, v10
	v_mov_b32_e32 v13, v19
	v_lshl_add_u64 v[8:9], v[10:11], 3, s[0:1]
	v_lshl_add_u64 v[12:13], v[12:13], 3, s[4:5]
	v_cndmask_b32_e32 v8, v12, v8, vcc
	v_add_u32_e32 v12, v10, v1
	;; [unrolled: 8-line block ×4, first 2 shown]
	v_cndmask_b32_e32 v13, v17, v13, vcc
	v_mov_b32_e32 v17, v19
	v_subrev_co_u32_e32 v22, vcc, s19, v16
	v_mov_b32_e32 v23, v19
	v_lshl_add_u64 v[14:15], v[16:17], 3, s[0:1]
	v_lshl_add_u64 v[22:23], v[22:23], 3, s[4:5]
	v_add_u32_e32 v16, v16, v1
	v_cndmask_b32_e32 v15, v23, v15, vcc
	v_cndmask_b32_e32 v14, v22, v14, vcc
	v_lshl_add_u64 v[22:23], v[16:17], 3, s[0:1]
	v_subrev_co_u32_e32 v16, vcc, s19, v16
	v_lshl_add_u64 v[16:17], v[16:17], 3, s[4:5]
	s_nop 0
	v_cndmask_b32_e32 v17, v17, v23, vcc
	v_cndmask_b32_e32 v16, v16, v22, vcc
	global_load_dwordx2 v[2:3], v[2:3], off
	s_add_i32 s17, s33, s19
	global_load_dwordx2 v[4:5], v[4:5], off
	s_nop 0
	global_load_dwordx2 v[6:7], v[6:7], off
	s_nop 0
	;; [unrolled: 2-line block ×6, first 2 shown]
	global_load_dwordx2 v[16:17], v[16:17], off
	s_cbranch_execz .LBB3_4
	s_branch .LBB3_21
.LBB3_3:
                                        ; implicit-def: $vgpr2_vgpr3_vgpr4_vgpr5_vgpr6_vgpr7_vgpr8_vgpr9_vgpr10_vgpr11_vgpr12_vgpr13_vgpr14_vgpr15_vgpr16_vgpr17
                                        ; implicit-def: $sgpr17
.LBB3_4:
	s_add_i32 s17, s33, s19
	s_waitcnt vmcnt(7)
	v_mov_b32_e32 v2, 0
	v_cmp_gt_u32_e32 vcc, s17, v0
	v_mov_b32_e32 v3, v2
	s_waitcnt vmcnt(6)
	v_mov_b32_e32 v4, v2
	v_mov_b32_e32 v5, v2
	s_waitcnt vmcnt(5)
	v_mov_b32_e32 v6, v2
	;; [unrolled: 3-line block ×7, first 2 shown]
	v_mov_b32_e32 v17, v2
	s_and_saveexec_b64 s[2:3], vcc
	s_cbranch_execz .LBB3_6
; %bb.5:
	v_subrev_u32_e32 v3, s19, v0
	v_mov_b32_e32 v19, v2
	v_lshlrev_b32_e32 v6, 3, v3
	v_mov_b32_e32 v7, v2
	v_lshl_add_u64 v[4:5], s[0:1], 0, v[18:19]
	v_lshl_add_u64 v[6:7], s[4:5], 0, v[6:7]
	v_cmp_gt_u32_e32 vcc, s19, v0
	v_mov_b32_e32 v24, v2
	v_mov_b32_e32 v25, v2
	v_cndmask_b32_e32 v5, v7, v5, vcc
	v_cndmask_b32_e32 v4, v6, v4, vcc
	global_load_dwordx2 v[22:23], v[4:5], off
	v_mov_b32_e32 v26, v2
	v_mov_b32_e32 v27, v2
	;; [unrolled: 1-line block ×12, first 2 shown]
	s_waitcnt vmcnt(0)
	v_mov_b64_e32 v[2:3], v[22:23]
	v_mov_b64_e32 v[4:5], v[24:25]
	;; [unrolled: 1-line block ×8, first 2 shown]
.LBB3_6:
	s_or_b64 exec, exec, s[2:3]
	v_cmp_gt_u32_e32 vcc, s17, v20
	s_and_saveexec_b64 s[2:3], vcc
	s_cbranch_execz .LBB3_8
; %bb.7:
	v_mov_b32_e32 v21, 0
	v_subrev_co_u32_e32 v22, vcc, s19, v20
	v_mov_b32_e32 v23, v21
	v_lshl_add_u64 v[4:5], v[20:21], 3, s[0:1]
	v_lshl_add_u64 v[22:23], v[22:23], 3, s[4:5]
	v_cndmask_b32_e32 v5, v23, v5, vcc
	v_cndmask_b32_e32 v4, v22, v4, vcc
	global_load_dwordx2 v[4:5], v[4:5], off
.LBB3_8:
	s_or_b64 exec, exec, s[2:3]
	v_add_u32_e32 v20, v20, v1
	v_cmp_gt_u32_e32 vcc, s17, v20
	s_and_saveexec_b64 s[2:3], vcc
	s_cbranch_execz .LBB3_10
; %bb.9:
	v_mov_b32_e32 v21, 0
	v_subrev_co_u32_e32 v22, vcc, s19, v20
	v_mov_b32_e32 v23, v21
	v_lshl_add_u64 v[6:7], v[20:21], 3, s[0:1]
	v_lshl_add_u64 v[22:23], v[22:23], 3, s[4:5]
	v_cndmask_b32_e32 v7, v23, v7, vcc
	v_cndmask_b32_e32 v6, v22, v6, vcc
	global_load_dwordx2 v[6:7], v[6:7], off
.LBB3_10:
	s_or_b64 exec, exec, s[2:3]
	v_add_u32_e32 v20, v20, v1
	;; [unrolled: 15-line block ×6, first 2 shown]
	v_cmp_gt_u32_e32 vcc, s17, v20
	s_and_saveexec_b64 s[2:3], vcc
	s_cbranch_execz .LBB3_20
; %bb.19:
	v_mov_b32_e32 v21, 0
	v_lshl_add_u64 v[16:17], v[20:21], 3, s[0:1]
	v_subrev_co_u32_e32 v20, vcc, s19, v20
	v_lshl_add_u64 v[20:21], v[20:21], 3, s[4:5]
	s_nop 0
	v_cndmask_b32_e32 v17, v21, v17, vcc
	v_cndmask_b32_e32 v16, v20, v16, vcc
	global_load_dwordx2 v[16:17], v[16:17], off
.LBB3_20:
	s_or_b64 exec, exec, s[2:3]
.LBB3_21:
	v_min_u32_e32 v1, s17, v18
	v_sub_u32_e64 v19, v1, s33 clamp
	v_min_u32_e32 v20, s19, v1
	v_cmp_lt_u32_e32 vcc, v19, v20
	s_waitcnt vmcnt(0)
	ds_write2st64_b64 v18, v[2:3], v[4:5] offset1:2
	ds_write2st64_b64 v18, v[6:7], v[8:9] offset0:4 offset1:6
	ds_write2st64_b64 v18, v[10:11], v[12:13] offset0:8 offset1:10
	;; [unrolled: 1-line block ×3, first 2 shown]
	s_waitcnt lgkmcnt(0)
	s_barrier
	s_and_saveexec_b64 s[0:1], vcc
	s_cbranch_execz .LBB3_25
; %bb.22:
	v_lshlrev_b32_e32 v21, 3, v1
	v_lshl_add_u32 v21, s19, 3, v21
	s_mov_b64 s[2:3], 0
.LBB3_23:                               ; =>This Inner Loop Header: Depth=1
	v_add_u32_e32 v22, v20, v19
	v_lshrrev_b32_e32 v26, 1, v22
	v_not_b32_e32 v22, v26
	v_lshlrev_b32_e32 v23, 3, v26
	v_lshl_add_u32 v24, v22, 3, v21
	ds_read_b64 v[22:23], v23
	ds_read_b64 v[24:25], v24
	v_add_u32_e32 v27, 1, v26
	s_waitcnt lgkmcnt(0)
	v_cmp_gt_u64_e32 vcc, v[24:25], v[22:23]
	s_nop 1
	v_cndmask_b32_e32 v20, v20, v26, vcc
	v_cndmask_b32_e32 v19, v27, v19, vcc
	v_cmp_ge_u32_e32 vcc, v19, v20
	s_or_b64 s[2:3], vcc, s[2:3]
	s_andn2_b64 exec, exec, s[2:3]
	s_cbranch_execnz .LBB3_23
; %bb.24:
	s_or_b64 exec, exec, s[2:3]
.LBB3_25:
	s_or_b64 exec, exec, s[0:1]
	v_sub_u32_e32 v1, v1, v19
	v_add_u32_e32 v20, s19, v1
	v_cmp_ge_u32_e32 vcc, s19, v19
	v_cmp_ge_u32_e64 s[0:1], s17, v20
	s_or_b64 s[0:1], vcc, s[0:1]
	v_mov_b32_e32 v27, 0
	v_mov_b32_e32 v30, 0
	;; [unrolled: 1-line block ×8, first 2 shown]
	s_and_saveexec_b64 s[30:31], s[0:1]
	s_cbranch_execz .LBB3_31
; %bb.26:
	v_cmp_gt_u32_e32 vcc, s19, v19
                                        ; implicit-def: $vgpr2_vgpr3
	s_and_saveexec_b64 s[0:1], vcc
; %bb.27:
	v_lshlrev_b32_e32 v1, 3, v19
	ds_read_b64 v[2:3], v1
; %bb.28:
	s_or_b64 exec, exec, s[0:1]
	v_cmp_le_u32_e64 s[0:1], s17, v20
	v_cmp_gt_u32_e64 s[2:3], s17, v20
                                        ; implicit-def: $vgpr4_vgpr5
	s_and_saveexec_b64 s[4:5], s[2:3]
; %bb.29:
	v_lshlrev_b32_e32 v1, 3, v20
	ds_read_b64 v[4:5], v1
; %bb.30:
	s_or_b64 exec, exec, s[4:5]
	s_waitcnt lgkmcnt(0)
	v_cmp_le_u64_e64 s[2:3], v[4:5], v[2:3]
	s_and_b64 s[2:3], vcc, s[2:3]
	s_or_b64 vcc, s[0:1], s[2:3]
	v_mov_b32_e32 v27, s17
	v_mov_b32_e32 v34, s19
	v_cndmask_b32_e32 v1, v20, v19, vcc
	v_cndmask_b32_e32 v6, v27, v34, vcc
	v_add_u32_e32 v10, 1, v1
	v_add_u32_e32 v6, -1, v6
	v_min_u32_e32 v6, v10, v6
	v_lshlrev_b32_e32 v6, 3, v6
	ds_read_b64 v[6:7], v6
	v_cndmask_b32_e32 v15, v19, v10, vcc
	v_cndmask_b32_e32 v14, v10, v20, vcc
	v_cmp_gt_u32_e64 s[2:3], s19, v15
	v_cmp_le_u32_e64 s[0:1], s17, v14
	s_waitcnt lgkmcnt(0)
	v_cndmask_b32_e32 v9, v7, v5, vcc
	v_cndmask_b32_e32 v8, v6, v4, vcc
	;; [unrolled: 1-line block ×4, first 2 shown]
	v_cmp_le_u64_e64 s[4:5], v[8:9], v[6:7]
	s_and_b64 s[2:3], s[2:3], s[4:5]
	s_or_b64 s[0:1], s[0:1], s[2:3]
	v_cndmask_b32_e64 v24, v14, v15, s[0:1]
	v_cndmask_b32_e64 v10, v27, v34, s[0:1]
	v_add_u32_e32 v16, 1, v24
	v_add_u32_e32 v10, -1, v10
	v_min_u32_e32 v10, v16, v10
	v_lshlrev_b32_e32 v10, 3, v10
	ds_read_b64 v[10:11], v10
	v_cndmask_b32_e64 v20, v15, v16, s[0:1]
	v_cndmask_b32_e64 v19, v16, v14, s[0:1]
	v_cmp_gt_u32_e64 s[4:5], s19, v20
	v_cmp_le_u32_e64 s[2:3], s17, v19
	s_waitcnt lgkmcnt(0)
	v_cndmask_b32_e64 v13, v11, v9, s[0:1]
	v_cndmask_b32_e64 v12, v10, v8, s[0:1]
	;; [unrolled: 1-line block ×4, first 2 shown]
	v_cmp_le_u64_e64 s[6:7], v[12:13], v[10:11]
	s_and_b64 s[4:5], s[4:5], s[6:7]
	s_or_b64 s[2:3], s[2:3], s[4:5]
	v_cndmask_b32_e64 v25, v19, v20, s[2:3]
	v_cndmask_b32_e64 v14, v27, v34, s[2:3]
	v_add_u32_e32 v21, 1, v25
	v_add_u32_e32 v14, -1, v14
	v_min_u32_e32 v14, v21, v14
	v_lshlrev_b32_e32 v14, 3, v14
	ds_read_b64 v[14:15], v14
	v_cndmask_b32_e64 v28, v20, v21, s[2:3]
	v_cndmask_b32_e64 v19, v21, v19, s[2:3]
	v_cmp_gt_u32_e64 s[6:7], s19, v28
	v_cmp_le_u32_e64 s[4:5], s17, v19
	s_waitcnt lgkmcnt(0)
	v_cndmask_b32_e64 v17, v15, v13, s[2:3]
	v_cndmask_b32_e64 v16, v14, v12, s[2:3]
	v_cndmask_b32_e64 v15, v11, v15, s[2:3]
	v_cndmask_b32_e64 v14, v10, v14, s[2:3]
	v_cmp_le_u64_e64 s[8:9], v[16:17], v[14:15]
	s_and_b64 s[6:7], s[6:7], s[8:9]
	s_or_b64 s[4:5], s[4:5], s[6:7]
	v_cndmask_b32_e64 v26, v19, v28, s[4:5]
	v_cndmask_b32_e64 v20, v27, v34, s[4:5]
	v_add_u32_e32 v29, 1, v26
	v_add_u32_e32 v20, -1, v20
	v_min_u32_e32 v20, v29, v20
	v_lshlrev_b32_e32 v20, 3, v20
	ds_read_b64 v[20:21], v20
	v_cndmask_b32_e64 v19, v29, v19, s[4:5]
	v_cndmask_b32_e64 v29, v28, v29, s[4:5]
	v_cmp_gt_u32_e64 s[6:7], s19, v29
	v_cndmask_b32_e32 v3, v5, v3, vcc
	s_waitcnt lgkmcnt(0)
	v_cndmask_b32_e64 v23, v21, v17, s[4:5]
	v_cndmask_b32_e64 v22, v20, v16, s[4:5]
	;; [unrolled: 1-line block ×4, first 2 shown]
	v_cmp_le_u64_e64 s[8:9], v[22:23], v[20:21]
	v_cndmask_b32_e32 v2, v4, v2, vcc
	v_cmp_le_u32_e32 vcc, s17, v19
	s_and_b64 s[6:7], s[6:7], s[8:9]
	s_or_b64 vcc, vcc, s[6:7]
	v_cndmask_b32_e32 v28, v19, v29, vcc
	v_cndmask_b32_e32 v4, v27, v34, vcc
	v_add_u32_e32 v35, 1, v28
	v_add_u32_e32 v4, -1, v4
	v_min_u32_e32 v4, v35, v4
	v_lshlrev_b32_e32 v4, 3, v4
	ds_read_b64 v[30:31], v4
	v_cndmask_b32_e64 v5, v9, v7, s[0:1]
	v_cndmask_b32_e64 v4, v8, v6, s[0:1]
	;; [unrolled: 1-line block ×4, first 2 shown]
	s_waitcnt lgkmcnt(0)
	v_cndmask_b32_e32 v13, v31, v23, vcc
	v_cndmask_b32_e32 v12, v30, v22, vcc
	v_cndmask_b32_e32 v33, v21, v31, vcc
	v_cndmask_b32_e32 v32, v20, v30, vcc
	v_cndmask_b32_e32 v19, v35, v19, vcc
	v_cndmask_b32_e32 v35, v29, v35, vcc
	v_cmp_gt_u32_e64 s[2:3], s19, v35
	v_cmp_le_u64_e64 s[6:7], v[12:13], v[32:33]
	v_cmp_le_u32_e64 s[0:1], s17, v19
	s_and_b64 s[2:3], s[2:3], s[6:7]
	s_or_b64 s[0:1], s[0:1], s[2:3]
	v_cndmask_b32_e64 v29, v19, v35, s[0:1]
	v_cndmask_b32_e64 v8, v27, v34, s[0:1]
	v_add_u32_e32 v36, 1, v29
	v_add_u32_e32 v8, -1, v8
	v_min_u32_e32 v8, v36, v8
	v_lshlrev_b32_e32 v8, 3, v8
	ds_read_b64 v[30:31], v8
	v_cndmask_b32_e64 v9, v17, v15, s[4:5]
	v_cndmask_b32_e64 v8, v16, v14, s[4:5]
	v_cndmask_b32_e32 v11, v23, v21, vcc
	v_cndmask_b32_e32 v10, v22, v20, vcc
	s_waitcnt lgkmcnt(0)
	v_cndmask_b32_e64 v17, v31, v13, s[0:1]
	v_cndmask_b32_e64 v16, v30, v12, s[0:1]
	;; [unrolled: 1-line block ×6, first 2 shown]
	v_cmp_gt_u32_e64 s[2:3], s19, v31
	v_cmp_le_u64_e64 s[4:5], v[16:17], v[20:21]
	v_cmp_le_u32_e32 vcc, s17, v19
	s_and_b64 s[2:3], s[2:3], s[4:5]
	s_or_b64 vcc, vcc, s[2:3]
	v_cndmask_b32_e32 v30, v19, v31, vcc
	v_cndmask_b32_e32 v14, v27, v34, vcc
	v_add_u32_e32 v27, 1, v30
	v_add_u32_e32 v14, -1, v14
	v_min_u32_e32 v14, v27, v14
	v_lshlrev_b32_e32 v14, 3, v14
	ds_read_b64 v[22:23], v14
	v_cndmask_b32_e32 v15, v17, v21, vcc
	v_cndmask_b32_e32 v14, v16, v20, vcc
	v_cndmask_b32_e64 v13, v13, v33, s[0:1]
	v_cndmask_b32_e64 v12, v12, v32, s[0:1]
	s_waitcnt lgkmcnt(0)
	v_cndmask_b32_e32 v17, v23, v17, vcc
	v_cndmask_b32_e32 v16, v22, v16, vcc
	;; [unrolled: 1-line block ×6, first 2 shown]
	v_cmp_gt_u32_e64 s[0:1], s19, v22
	v_cmp_le_u64_e64 s[2:3], v[16:17], v[20:21]
	v_cmp_le_u32_e32 vcc, s17, v19
	s_and_b64 s[0:1], s[0:1], s[2:3]
	s_or_b64 vcc, vcc, s[0:1]
	v_cndmask_b32_e32 v27, v19, v22, vcc
	v_cndmask_b32_e32 v17, v17, v21, vcc
	;; [unrolled: 1-line block ×3, first 2 shown]
.LBB3_31:
	s_or_b64 exec, exec, s[30:31]
	s_add_u32 s8, s12, s26
	s_addc_u32 s9, s13, s27
	s_add_u32 s6, s12, s28
	v_cndmask_b32_e64 v19, 0, 1, s[20:21]
	v_mov_b32_e32 v21, 0
	s_addc_u32 s7, s13, s29
	v_cmp_gt_u32_e64 s[4:5], s19, v0
	v_cmp_ne_u32_e64 s[0:1], 1, v19
	s_andn2_b64 vcc, exec, s[20:21]
	v_cmp_le_u32_e64 s[2:3], s19, v0
	s_barrier
	s_cbranch_vccnz .LBB3_33
; %bb.32:
	v_subrev_u32_e32 v19, s19, v0
	v_lshlrev_b32_e32 v20, 3, v19
	v_mov_b32_e32 v19, v21
	v_lshl_add_u64 v[32:33], s[8:9], 0, v[18:19]
	v_or_b32_e32 v19, 0x80, v0
	v_lshl_add_u64 v[22:23], s[6:7], 0, v[20:21]
	v_subrev_u32_e32 v20, s19, v19
	v_cndmask_b32_e64 v23, v23, v33, s[4:5]
	v_cndmask_b32_e64 v22, v22, v32, s[4:5]
	v_min_u32_e32 v20, v19, v20
	v_mov_b32_e32 v31, s7
	v_mov_b32_e32 v46, s9
	v_cmp_gt_u32_e32 vcc, s19, v19
	v_mov_b32_e32 v47, s6
	v_mov_b32_e32 v48, s8
	global_load_dwordx2 v[32:33], v[22:23], off
	v_cndmask_b32_e32 v23, v31, v46, vcc
	v_cndmask_b32_e32 v22, v47, v48, vcc
	v_lshlrev_b32_e32 v20, 3, v20
	v_or_b32_e32 v19, 0x100, v0
	v_lshl_add_u64 v[22:23], v[22:23], 0, v[20:21]
	v_subrev_u32_e32 v20, s19, v19
	v_min_u32_e32 v20, v19, v20
	v_cmp_gt_u32_e32 vcc, s19, v19
	global_load_dwordx2 v[34:35], v[22:23], off
	v_lshlrev_b32_e32 v20, 3, v20
	v_cndmask_b32_e32 v23, v31, v46, vcc
	v_cndmask_b32_e32 v22, v47, v48, vcc
	v_or_b32_e32 v19, 0x180, v0
	v_lshl_add_u64 v[22:23], v[22:23], 0, v[20:21]
	v_subrev_u32_e32 v20, s19, v19
	v_min_u32_e32 v20, v19, v20
	v_cmp_gt_u32_e32 vcc, s19, v19
	global_load_dwordx2 v[36:37], v[22:23], off
	v_lshlrev_b32_e32 v20, 3, v20
	v_cndmask_b32_e32 v23, v31, v46, vcc
	v_cndmask_b32_e32 v22, v47, v48, vcc
	;; [unrolled: 9-line block ×5, first 2 shown]
	v_lshl_add_u64 v[20:21], v[22:23], 0, v[20:21]
	global_load_dwordx2 v[44:45], v[20:21], off
	v_or_b32_e32 v19, 0x380, v0
	v_subrev_u32_e32 v20, s19, v19
	v_cmp_gt_u32_e32 vcc, s19, v19
	v_min_u32_e32 v22, v19, v20
	s_nop 0
	v_cndmask_b32_e32 v21, v31, v46, vcc
	v_cndmask_b32_e32 v20, v47, v48, vcc
	s_mov_b64 s[4:5], -1
	s_waitcnt vmcnt(5)
	ds_write2st64_b64 v18, v[32:33], v[34:35] offset1:2
	s_waitcnt vmcnt(3)
	ds_write2st64_b64 v18, v[36:37], v[38:39] offset0:4 offset1:6
	s_waitcnt vmcnt(1)
	ds_write2st64_b64 v18, v[40:41], v[42:43] offset0:8 offset1:10
	s_waitcnt vmcnt(0)
	ds_write_b64 v18, v[44:45] offset:6144
	s_cbranch_execz .LBB3_34
	s_branch .LBB3_65
.LBB3_33:
	s_mov_b64 s[4:5], 0
                                        ; implicit-def: $vgpr19
                                        ; implicit-def: $vgpr20_vgpr21
                                        ; implicit-def: $vgpr22
.LBB3_34:
	s_mov_b64 s[4:5], 0
                                        ; implicit-def: $vgpr20_vgpr21
	s_and_saveexec_b64 s[26:27], s[2:3]
	s_xor_b64 s[2:3], exec, s[26:27]
	s_cbranch_execnz .LBB3_104
; %bb.35:
	s_andn2_saveexec_b64 s[2:3], s[2:3]
	s_cbranch_execnz .LBB3_107
.LBB3_36:
	s_or_b64 exec, exec, s[2:3]
	s_and_saveexec_b64 s[2:3], s[4:5]
	s_cbranch_execz .LBB3_38
.LBB3_37:
	global_load_dwordx2 v[20:21], v[20:21], off
	s_waitcnt vmcnt(0)
	ds_write_b64 v18, v[20:21]
.LBB3_38:
	s_or_b64 exec, exec, s[2:3]
	v_or_b32_e32 v19, 0x80, v0
	v_cmp_le_u32_e32 vcc, s19, v19
	s_mov_b64 s[2:3], -1
	v_mov_b64_e32 v[20:21], s[22:23]
	s_and_saveexec_b64 s[4:5], vcc
; %bb.39:
	v_subrev_u32_e32 v19, s19, v19
	v_cmp_gt_u32_e32 vcc, s33, v19
	v_mov_b64_e32 v[20:21], s[24:25]
	s_orn2_b64 s[2:3], vcc, exec
; %bb.40:
	s_or_b64 exec, exec, s[4:5]
	s_and_saveexec_b64 s[4:5], s[2:3]
	s_cbranch_execz .LBB3_42
; %bb.41:
	v_lshl_add_u64 v[20:21], v[20:21], 3, s[12:13]
	v_lshlrev_b32_e32 v22, 3, v19
	v_mov_b32_e32 v23, 0
	v_lshl_add_u64 v[20:21], v[20:21], 0, v[22:23]
	global_load_dwordx2 v[20:21], v[20:21], off
	s_waitcnt vmcnt(0)
	ds_write_b64 v18, v[20:21] offset:1024
.LBB3_42:
	s_or_b64 exec, exec, s[4:5]
	v_or_b32_e32 v19, 0x100, v0
	v_cmp_le_u32_e32 vcc, s19, v19
	s_mov_b64 s[2:3], -1
	v_mov_b64_e32 v[20:21], s[22:23]
	s_and_saveexec_b64 s[4:5], vcc
; %bb.43:
	v_subrev_u32_e32 v19, s19, v19
	v_cmp_gt_u32_e32 vcc, s33, v19
	v_mov_b64_e32 v[20:21], s[24:25]
	s_orn2_b64 s[2:3], vcc, exec
; %bb.44:
	s_or_b64 exec, exec, s[4:5]
	s_and_saveexec_b64 s[4:5], s[2:3]
	s_cbranch_execz .LBB3_46
; %bb.45:
	v_lshl_add_u64 v[20:21], v[20:21], 3, s[12:13]
	v_lshlrev_b32_e32 v22, 3, v19
	v_mov_b32_e32 v23, 0
	v_lshl_add_u64 v[20:21], v[20:21], 0, v[22:23]
	global_load_dwordx2 v[20:21], v[20:21], off
	s_waitcnt vmcnt(0)
	ds_write_b64 v18, v[20:21] offset:2048
.LBB3_46:
	;; [unrolled: 24-line block ×6, first 2 shown]
	s_or_b64 exec, exec, s[4:5]
	v_or_b32_e32 v19, 0x380, v0
	v_cmp_le_u32_e32 vcc, s19, v19
	s_mov_b64 s[4:5], -1
	v_mov_b64_e32 v[20:21], s[8:9]
	v_mov_b32_e32 v22, v19
	s_and_saveexec_b64 s[2:3], vcc
; %bb.63:
	v_subrev_u32_e32 v22, s19, v19
	v_cmp_gt_u32_e32 vcc, s33, v22
	v_mov_b64_e32 v[20:21], s[6:7]
	s_orn2_b64 s[4:5], vcc, exec
; %bb.64:
	s_or_b64 exec, exec, s[2:3]
.LBB3_65:
	s_and_saveexec_b64 s[2:3], s[4:5]
	s_cbranch_execz .LBB3_67
; %bb.66:
	v_mov_b32_e32 v23, 0
	v_lshl_add_u64 v[20:21], v[22:23], 3, v[20:21]
	global_load_dwordx2 v[20:21], v[20:21], off
	v_lshlrev_b32_e32 v19, 3, v19
	s_waitcnt vmcnt(0)
	ds_write_b64 v19, v[20:21]
.LBB3_67:
	s_or_b64 exec, exec, s[2:3]
	s_and_b64 vcc, exec, s[0:1]
	v_add_u32_e32 v20, s18, v18
	s_waitcnt lgkmcnt(0)
	s_barrier
	s_cbranch_vccnz .LBB3_69
; %bb.68:
	v_lshlrev_b32_e32 v19, 3, v1
	v_lshlrev_b32_e32 v22, 3, v24
	;; [unrolled: 1-line block ×4, first 2 shown]
	ds_read_b64 v[34:35], v19
	ds_read_b64 v[36:37], v22
	;; [unrolled: 1-line block ×4, first 2 shown]
	v_lshlrev_b32_e32 v19, 3, v28
	v_lshlrev_b32_e32 v22, 3, v29
	;; [unrolled: 1-line block ×3, first 2 shown]
	ds_read_b64 v[42:43], v19
	ds_read_b64 v[44:45], v22
	;; [unrolled: 1-line block ×3, first 2 shown]
	v_mov_b32_e32 v21, 0
	v_lshl_add_u64 v[32:33], v[20:21], 3, s[14:15]
	s_mov_b64 s[0:1], -1
	s_waitcnt lgkmcnt(5)
	global_store_dwordx4 v[32:33], v[34:37], off
	s_waitcnt lgkmcnt(3)
	global_store_dwordx4 v[32:33], v[38:41], off offset:16
	s_waitcnt lgkmcnt(1)
	global_store_dwordx4 v[32:33], v[42:45], off offset:32
	s_waitcnt lgkmcnt(0)
	global_store_dwordx2 v[32:33], v[22:23], off offset:48
	s_cbranch_execz .LBB3_70
	s_branch .LBB3_87
.LBB3_69:
	s_mov_b64 s[0:1], 0
.LBB3_70:
	v_cmp_gt_u32_e32 vcc, s17, v18
	s_and_saveexec_b64 s[2:3], vcc
	s_cbranch_execz .LBB3_72
; %bb.71:
	v_lshlrev_b32_e32 v1, 3, v1
	ds_read_b64 v[22:23], v1
	v_mov_b32_e32 v21, 0
	v_lshl_add_u64 v[32:33], v[20:21], 3, s[14:15]
	s_waitcnt lgkmcnt(0)
	global_store_dwordx2 v[32:33], v[22:23], off
.LBB3_72:
	s_or_b64 exec, exec, s[2:3]
	v_or_b32_e32 v1, 1, v18
	v_cmp_gt_u32_e32 vcc, s17, v1
	s_and_saveexec_b64 s[2:3], vcc
	s_cbranch_execz .LBB3_74
; %bb.73:
	v_lshlrev_b32_e32 v1, 3, v24
	ds_read_b64 v[22:23], v1
	v_mov_b32_e32 v21, 0
	v_lshl_add_u64 v[32:33], v[20:21], 3, s[14:15]
	s_waitcnt lgkmcnt(0)
	global_store_dwordx2 v[32:33], v[22:23], off offset:8
.LBB3_74:
	s_or_b64 exec, exec, s[2:3]
	v_or_b32_e32 v1, 2, v18
	v_cmp_gt_u32_e32 vcc, s17, v1
	s_and_saveexec_b64 s[2:3], vcc
	s_cbranch_execz .LBB3_76
; %bb.75:
	v_lshlrev_b32_e32 v1, 3, v25
	ds_read_b64 v[22:23], v1
	v_mov_b32_e32 v21, 0
	v_lshl_add_u64 v[24:25], v[20:21], 3, s[14:15]
	s_waitcnt lgkmcnt(0)
	global_store_dwordx2 v[24:25], v[22:23], off offset:16
.LBB3_76:
	;; [unrolled: 13-line block ×6, first 2 shown]
	s_or_b64 exec, exec, s[2:3]
	v_or_b32_e32 v1, 7, v18
	v_cmp_gt_u32_e32 vcc, s17, v1
	s_and_saveexec_b64 s[2:3], vcc
; %bb.85:
	v_mov_b32_e32 v21, 0
	s_or_b64 s[0:1], s[0:1], exec
; %bb.86:
	s_or_b64 exec, exec, s[2:3]
.LBB3_87:
	s_and_saveexec_b64 s[2:3], s[0:1]
	s_cbranch_execz .LBB3_89
; %bb.88:
	v_lshlrev_b32_e32 v1, 3, v27
	ds_read_b64 v[22:23], v1
	v_lshl_add_u64 v[20:21], v[20:21], 3, s[14:15]
	s_waitcnt lgkmcnt(0)
	global_store_dwordx2 v[20:21], v[22:23], off offset:56
.LBB3_89:
	s_or_b64 exec, exec, s[2:3]
	v_lshrrev_b32_e32 v1, 2, v0
	v_lshlrev_b32_e32 v19, 3, v18
	v_lshl_add_u32 v19, v1, 3, v19
	v_and_b32_e32 v1, 24, v1
	v_or_b32_e32 v23, 0x80, v0
	v_add_u32_e32 v24, v1, v18
	v_lshrrev_b32_e32 v1, 2, v23
	v_and_b32_e32 v1, 56, v1
	v_or_b32_e32 v22, 0x100, v0
	s_barrier
	s_barrier
	ds_write2_b64 v19, v[2:3], v[4:5] offset1:1
	ds_write2_b64 v19, v[6:7], v[8:9] offset0:2 offset1:3
	ds_write2_b64 v19, v[10:11], v[12:13] offset0:4 offset1:5
	;; [unrolled: 1-line block ×3, first 2 shown]
	v_add_u32_e32 v4, v1, v18
	v_lshrrev_b32_e32 v1, 2, v22
	v_and_b32_e32 v1, 0x58, v1
	v_or_b32_e32 v21, 0x180, v0
	v_add_u32_e32 v5, v1, v18
	v_lshrrev_b32_e32 v1, 2, v21
	v_and_b32_e32 v1, 0x78, v1
	v_or_b32_e32 v20, 0x200, v0
	;; [unrolled: 4-line block ×4, first 2 shown]
	v_add_u32_e32 v25, v1, v18
	v_lshrrev_b32_e32 v1, 2, v16
	s_mov_b32 s19, 0
	v_and_b32_e32 v1, 0xd8, v1
	s_lshl_b64 s[0:1], s[18:19], 3
	v_add_u32_e32 v26, v1, v18
	v_or_b32_e32 v1, 0x380, v0
	s_add_u32 s0, s10, s0
	v_lshrrev_b32_e32 v2, 2, v1
	s_addc_u32 s1, s11, s1
	v_and_b32_e32 v2, 0xf8, v2
	v_mov_b32_e32 v19, 0
	v_add_u32_e32 v27, v2, v18
	v_lshl_add_u64 v[2:3], s[0:1], 0, v[18:19]
	s_and_b64 vcc, exec, s[20:21]
	s_waitcnt lgkmcnt(0)
	s_cbranch_vccz .LBB3_91
; %bb.90:
	s_barrier
	ds_read_b64 v[8:9], v24
	ds_read_b64 v[10:11], v4 offset:1024
	ds_read_b64 v[12:13], v5 offset:2048
	;; [unrolled: 1-line block ×7, first 2 shown]
	s_waitcnt lgkmcnt(7)
	global_store_dwordx2 v[2:3], v[8:9], off
	s_waitcnt lgkmcnt(6)
	global_store_dwordx2 v[2:3], v[10:11], off offset:1024
	s_waitcnt lgkmcnt(5)
	global_store_dwordx2 v[2:3], v[12:13], off offset:2048
	s_waitcnt lgkmcnt(4)
	global_store_dwordx2 v[2:3], v[14:15], off offset:3072
	v_add_co_u32_e32 v8, vcc, 0x1000, v2
	s_nop 1
	v_addc_co_u32_e32 v9, vcc, 0, v3, vcc
	s_waitcnt lgkmcnt(3)
	global_store_dwordx2 v[8:9], v[28:29], off
	s_waitcnt lgkmcnt(2)
	global_store_dwordx2 v[8:9], v[30:31], off offset:1024
	s_waitcnt lgkmcnt(1)
	global_store_dwordx2 v[8:9], v[32:33], off offset:2048
	s_mov_b64 s[0:1], -1
	s_cbranch_execz .LBB3_92
	s_branch .LBB3_101
.LBB3_91:
	s_mov_b64 s[0:1], 0
                                        ; implicit-def: $vgpr18_vgpr19
.LBB3_92:
	s_barrier
	s_waitcnt lgkmcnt(0)
	ds_read_b64 v[14:15], v4 offset:1024
	ds_read_b64 v[12:13], v5 offset:2048
	;; [unrolled: 1-line block ×7, first 2 shown]
	s_sub_i32 s2, s16, s18
	v_cmp_gt_u32_e32 vcc, s2, v0
	s_and_saveexec_b64 s[0:1], vcc
	s_cbranch_execnz .LBB3_108
; %bb.93:
	s_or_b64 exec, exec, s[0:1]
	v_cmp_gt_u32_e32 vcc, s2, v23
	s_and_saveexec_b64 s[0:1], vcc
	s_cbranch_execnz .LBB3_109
.LBB3_94:
	s_or_b64 exec, exec, s[0:1]
	v_cmp_gt_u32_e32 vcc, s2, v22
	s_and_saveexec_b64 s[0:1], vcc
	s_cbranch_execnz .LBB3_110
.LBB3_95:
	s_or_b64 exec, exec, s[0:1]
	v_cmp_gt_u32_e32 vcc, s2, v21
	s_and_saveexec_b64 s[0:1], vcc
	s_cbranch_execnz .LBB3_111
.LBB3_96:
	s_or_b64 exec, exec, s[0:1]
	v_cmp_gt_u32_e32 vcc, s2, v20
	s_and_saveexec_b64 s[0:1], vcc
	s_cbranch_execnz .LBB3_112
.LBB3_97:
	s_or_b64 exec, exec, s[0:1]
	v_cmp_gt_u32_e32 vcc, s2, v17
	s_and_saveexec_b64 s[0:1], vcc
	s_cbranch_execnz .LBB3_113
.LBB3_98:
	s_or_b64 exec, exec, s[0:1]
	v_cmp_gt_u32_e32 vcc, s2, v16
	s_and_saveexec_b64 s[0:1], vcc
	s_cbranch_execz .LBB3_100
.LBB3_99:
	s_waitcnt lgkmcnt(2)
	v_add_co_u32_e32 v6, vcc, 0x1000, v2
	s_nop 1
	v_addc_co_u32_e32 v7, vcc, 0, v3, vcc
	s_waitcnt lgkmcnt(1)
	global_store_dwordx2 v[6:7], v[4:5], off offset:2048
.LBB3_100:
	s_or_b64 exec, exec, s[0:1]
	v_cmp_gt_u32_e64 s[0:1], s2, v1
.LBB3_101:
	s_and_saveexec_b64 s[2:3], s[0:1]
	s_cbranch_execz .LBB3_103
; %bb.102:
	v_add_co_u32_e32 v0, vcc, 0x1000, v2
	s_nop 1
	v_addc_co_u32_e32 v1, vcc, 0, v3, vcc
	s_waitcnt lgkmcnt(0)
	global_store_dwordx2 v[0:1], v[18:19], off offset:3072
.LBB3_103:
	s_endpgm
.LBB3_104:
	v_subrev_u32_e32 v19, s19, v0
	v_cmp_gt_u32_e32 vcc, s33, v19
                                        ; implicit-def: $vgpr20_vgpr21
	s_and_saveexec_b64 s[26:27], vcc
	s_xor_b64 s[26:27], exec, s[26:27]
; %bb.105:
	v_lshlrev_b32_e32 v20, 3, v19
	v_mov_b32_e32 v21, 0
	s_mov_b64 s[4:5], exec
	v_lshl_add_u64 v[20:21], s[6:7], 0, v[20:21]
; %bb.106:
	s_or_b64 exec, exec, s[26:27]
	s_and_b64 s[4:5], s[4:5], exec
	s_andn2_saveexec_b64 s[2:3], s[2:3]
	s_cbranch_execz .LBB3_36
.LBB3_107:
	v_mov_b32_e32 v19, 0
	v_lshl_add_u64 v[20:21], s[8:9], 0, v[18:19]
	s_or_b64 s[4:5], s[4:5], exec
	s_or_b64 exec, exec, s[2:3]
	s_and_saveexec_b64 s[2:3], s[4:5]
	s_cbranch_execnz .LBB3_37
	s_branch .LBB3_38
.LBB3_108:
	ds_read_b64 v[24:25], v24
	s_waitcnt lgkmcnt(0)
	global_store_dwordx2 v[2:3], v[24:25], off
	s_or_b64 exec, exec, s[0:1]
	v_cmp_gt_u32_e32 vcc, s2, v23
	s_and_saveexec_b64 s[0:1], vcc
	s_cbranch_execz .LBB3_94
.LBB3_109:
	s_waitcnt lgkmcnt(6)
	global_store_dwordx2 v[2:3], v[14:15], off offset:1024
	s_or_b64 exec, exec, s[0:1]
	v_cmp_gt_u32_e32 vcc, s2, v22
	s_and_saveexec_b64 s[0:1], vcc
	s_cbranch_execz .LBB3_95
.LBB3_110:
	s_waitcnt lgkmcnt(5)
	global_store_dwordx2 v[2:3], v[12:13], off offset:2048
	s_or_b64 exec, exec, s[0:1]
	v_cmp_gt_u32_e32 vcc, s2, v21
	s_and_saveexec_b64 s[0:1], vcc
	s_cbranch_execz .LBB3_96
.LBB3_111:
	s_waitcnt lgkmcnt(4)
	global_store_dwordx2 v[2:3], v[10:11], off offset:3072
	s_or_b64 exec, exec, s[0:1]
	v_cmp_gt_u32_e32 vcc, s2, v20
	s_and_saveexec_b64 s[0:1], vcc
	s_cbranch_execz .LBB3_97
.LBB3_112:
	s_waitcnt lgkmcnt(4)
	v_add_co_u32_e32 v10, vcc, 0x1000, v2
	s_nop 1
	v_addc_co_u32_e32 v11, vcc, 0, v3, vcc
	s_waitcnt lgkmcnt(3)
	global_store_dwordx2 v[10:11], v[8:9], off
	s_or_b64 exec, exec, s[0:1]
	v_cmp_gt_u32_e32 vcc, s2, v17
	s_and_saveexec_b64 s[0:1], vcc
	s_cbranch_execz .LBB3_98
.LBB3_113:
	s_waitcnt lgkmcnt(3)
	v_add_co_u32_e32 v8, vcc, 0x1000, v2
	s_nop 1
	v_addc_co_u32_e32 v9, vcc, 0, v3, vcc
	s_waitcnt lgkmcnt(2)
	global_store_dwordx2 v[8:9], v[6:7], off offset:1024
	s_or_b64 exec, exec, s[0:1]
	v_cmp_gt_u32_e32 vcc, s2, v16
	s_and_saveexec_b64 s[0:1], vcc
	s_cbranch_execnz .LBB3_99
	s_branch .LBB3_100
	.section	.rodata,"a",@progbits
	.p2align	6, 0x0
	.amdhsa_kernel _ZN7rocprim17ROCPRIM_304000_NS6detail35device_block_merge_mergepath_kernelINS1_37wrapped_merge_sort_block_merge_configINS0_14default_configEmN2at4cuda3cub6detail10OpaqueTypeILi8EEEEEPmSC_PSA_SD_jNS1_19radix_merge_compareILb1ELb0EmNS0_19identity_decomposerEEEEEvT0_T1_T2_T3_T4_SL_jT5_PKSL_NS1_7vsmem_tE
		.amdhsa_group_segment_fixed_size 8448
		.amdhsa_private_segment_fixed_size 0
		.amdhsa_kernarg_size 320
		.amdhsa_user_sgpr_count 2
		.amdhsa_user_sgpr_dispatch_ptr 0
		.amdhsa_user_sgpr_queue_ptr 0
		.amdhsa_user_sgpr_kernarg_segment_ptr 1
		.amdhsa_user_sgpr_dispatch_id 0
		.amdhsa_user_sgpr_kernarg_preload_length 0
		.amdhsa_user_sgpr_kernarg_preload_offset 0
		.amdhsa_user_sgpr_private_segment_size 0
		.amdhsa_uses_dynamic_stack 0
		.amdhsa_enable_private_segment 0
		.amdhsa_system_sgpr_workgroup_id_x 1
		.amdhsa_system_sgpr_workgroup_id_y 1
		.amdhsa_system_sgpr_workgroup_id_z 1
		.amdhsa_system_sgpr_workgroup_info 0
		.amdhsa_system_vgpr_workitem_id 0
		.amdhsa_next_free_vgpr 49
		.amdhsa_next_free_sgpr 36
		.amdhsa_accum_offset 52
		.amdhsa_reserve_vcc 1
		.amdhsa_float_round_mode_32 0
		.amdhsa_float_round_mode_16_64 0
		.amdhsa_float_denorm_mode_32 3
		.amdhsa_float_denorm_mode_16_64 3
		.amdhsa_dx10_clamp 1
		.amdhsa_ieee_mode 1
		.amdhsa_fp16_overflow 0
		.amdhsa_tg_split 0
		.amdhsa_exception_fp_ieee_invalid_op 0
		.amdhsa_exception_fp_denorm_src 0
		.amdhsa_exception_fp_ieee_div_zero 0
		.amdhsa_exception_fp_ieee_overflow 0
		.amdhsa_exception_fp_ieee_underflow 0
		.amdhsa_exception_fp_ieee_inexact 0
		.amdhsa_exception_int_div_zero 0
	.end_amdhsa_kernel
	.section	.text._ZN7rocprim17ROCPRIM_304000_NS6detail35device_block_merge_mergepath_kernelINS1_37wrapped_merge_sort_block_merge_configINS0_14default_configEmN2at4cuda3cub6detail10OpaqueTypeILi8EEEEEPmSC_PSA_SD_jNS1_19radix_merge_compareILb1ELb0EmNS0_19identity_decomposerEEEEEvT0_T1_T2_T3_T4_SL_jT5_PKSL_NS1_7vsmem_tE,"axG",@progbits,_ZN7rocprim17ROCPRIM_304000_NS6detail35device_block_merge_mergepath_kernelINS1_37wrapped_merge_sort_block_merge_configINS0_14default_configEmN2at4cuda3cub6detail10OpaqueTypeILi8EEEEEPmSC_PSA_SD_jNS1_19radix_merge_compareILb1ELb0EmNS0_19identity_decomposerEEEEEvT0_T1_T2_T3_T4_SL_jT5_PKSL_NS1_7vsmem_tE,comdat
.Lfunc_end3:
	.size	_ZN7rocprim17ROCPRIM_304000_NS6detail35device_block_merge_mergepath_kernelINS1_37wrapped_merge_sort_block_merge_configINS0_14default_configEmN2at4cuda3cub6detail10OpaqueTypeILi8EEEEEPmSC_PSA_SD_jNS1_19radix_merge_compareILb1ELb0EmNS0_19identity_decomposerEEEEEvT0_T1_T2_T3_T4_SL_jT5_PKSL_NS1_7vsmem_tE, .Lfunc_end3-_ZN7rocprim17ROCPRIM_304000_NS6detail35device_block_merge_mergepath_kernelINS1_37wrapped_merge_sort_block_merge_configINS0_14default_configEmN2at4cuda3cub6detail10OpaqueTypeILi8EEEEEPmSC_PSA_SD_jNS1_19radix_merge_compareILb1ELb0EmNS0_19identity_decomposerEEEEEvT0_T1_T2_T3_T4_SL_jT5_PKSL_NS1_7vsmem_tE
                                        ; -- End function
	.set _ZN7rocprim17ROCPRIM_304000_NS6detail35device_block_merge_mergepath_kernelINS1_37wrapped_merge_sort_block_merge_configINS0_14default_configEmN2at4cuda3cub6detail10OpaqueTypeILi8EEEEEPmSC_PSA_SD_jNS1_19radix_merge_compareILb1ELb0EmNS0_19identity_decomposerEEEEEvT0_T1_T2_T3_T4_SL_jT5_PKSL_NS1_7vsmem_tE.num_vgpr, 49
	.set _ZN7rocprim17ROCPRIM_304000_NS6detail35device_block_merge_mergepath_kernelINS1_37wrapped_merge_sort_block_merge_configINS0_14default_configEmN2at4cuda3cub6detail10OpaqueTypeILi8EEEEEPmSC_PSA_SD_jNS1_19radix_merge_compareILb1ELb0EmNS0_19identity_decomposerEEEEEvT0_T1_T2_T3_T4_SL_jT5_PKSL_NS1_7vsmem_tE.num_agpr, 0
	.set _ZN7rocprim17ROCPRIM_304000_NS6detail35device_block_merge_mergepath_kernelINS1_37wrapped_merge_sort_block_merge_configINS0_14default_configEmN2at4cuda3cub6detail10OpaqueTypeILi8EEEEEPmSC_PSA_SD_jNS1_19radix_merge_compareILb1ELb0EmNS0_19identity_decomposerEEEEEvT0_T1_T2_T3_T4_SL_jT5_PKSL_NS1_7vsmem_tE.numbered_sgpr, 36
	.set _ZN7rocprim17ROCPRIM_304000_NS6detail35device_block_merge_mergepath_kernelINS1_37wrapped_merge_sort_block_merge_configINS0_14default_configEmN2at4cuda3cub6detail10OpaqueTypeILi8EEEEEPmSC_PSA_SD_jNS1_19radix_merge_compareILb1ELb0EmNS0_19identity_decomposerEEEEEvT0_T1_T2_T3_T4_SL_jT5_PKSL_NS1_7vsmem_tE.num_named_barrier, 0
	.set _ZN7rocprim17ROCPRIM_304000_NS6detail35device_block_merge_mergepath_kernelINS1_37wrapped_merge_sort_block_merge_configINS0_14default_configEmN2at4cuda3cub6detail10OpaqueTypeILi8EEEEEPmSC_PSA_SD_jNS1_19radix_merge_compareILb1ELb0EmNS0_19identity_decomposerEEEEEvT0_T1_T2_T3_T4_SL_jT5_PKSL_NS1_7vsmem_tE.private_seg_size, 0
	.set _ZN7rocprim17ROCPRIM_304000_NS6detail35device_block_merge_mergepath_kernelINS1_37wrapped_merge_sort_block_merge_configINS0_14default_configEmN2at4cuda3cub6detail10OpaqueTypeILi8EEEEEPmSC_PSA_SD_jNS1_19radix_merge_compareILb1ELb0EmNS0_19identity_decomposerEEEEEvT0_T1_T2_T3_T4_SL_jT5_PKSL_NS1_7vsmem_tE.uses_vcc, 1
	.set _ZN7rocprim17ROCPRIM_304000_NS6detail35device_block_merge_mergepath_kernelINS1_37wrapped_merge_sort_block_merge_configINS0_14default_configEmN2at4cuda3cub6detail10OpaqueTypeILi8EEEEEPmSC_PSA_SD_jNS1_19radix_merge_compareILb1ELb0EmNS0_19identity_decomposerEEEEEvT0_T1_T2_T3_T4_SL_jT5_PKSL_NS1_7vsmem_tE.uses_flat_scratch, 0
	.set _ZN7rocprim17ROCPRIM_304000_NS6detail35device_block_merge_mergepath_kernelINS1_37wrapped_merge_sort_block_merge_configINS0_14default_configEmN2at4cuda3cub6detail10OpaqueTypeILi8EEEEEPmSC_PSA_SD_jNS1_19radix_merge_compareILb1ELb0EmNS0_19identity_decomposerEEEEEvT0_T1_T2_T3_T4_SL_jT5_PKSL_NS1_7vsmem_tE.has_dyn_sized_stack, 0
	.set _ZN7rocprim17ROCPRIM_304000_NS6detail35device_block_merge_mergepath_kernelINS1_37wrapped_merge_sort_block_merge_configINS0_14default_configEmN2at4cuda3cub6detail10OpaqueTypeILi8EEEEEPmSC_PSA_SD_jNS1_19radix_merge_compareILb1ELb0EmNS0_19identity_decomposerEEEEEvT0_T1_T2_T3_T4_SL_jT5_PKSL_NS1_7vsmem_tE.has_recursion, 0
	.set _ZN7rocprim17ROCPRIM_304000_NS6detail35device_block_merge_mergepath_kernelINS1_37wrapped_merge_sort_block_merge_configINS0_14default_configEmN2at4cuda3cub6detail10OpaqueTypeILi8EEEEEPmSC_PSA_SD_jNS1_19radix_merge_compareILb1ELb0EmNS0_19identity_decomposerEEEEEvT0_T1_T2_T3_T4_SL_jT5_PKSL_NS1_7vsmem_tE.has_indirect_call, 0
	.section	.AMDGPU.csdata,"",@progbits
; Kernel info:
; codeLenInByte = 5564
; TotalNumSgprs: 42
; NumVgprs: 49
; NumAgprs: 0
; TotalNumVgprs: 49
; ScratchSize: 0
; MemoryBound: 1
; FloatMode: 240
; IeeeMode: 1
; LDSByteSize: 8448 bytes/workgroup (compile time only)
; SGPRBlocks: 5
; VGPRBlocks: 6
; NumSGPRsForWavesPerEU: 42
; NumVGPRsForWavesPerEU: 49
; AccumOffset: 52
; Occupancy: 8
; WaveLimiterHint : 1
; COMPUTE_PGM_RSRC2:SCRATCH_EN: 0
; COMPUTE_PGM_RSRC2:USER_SGPR: 2
; COMPUTE_PGM_RSRC2:TRAP_HANDLER: 0
; COMPUTE_PGM_RSRC2:TGID_X_EN: 1
; COMPUTE_PGM_RSRC2:TGID_Y_EN: 1
; COMPUTE_PGM_RSRC2:TGID_Z_EN: 1
; COMPUTE_PGM_RSRC2:TIDIG_COMP_CNT: 0
; COMPUTE_PGM_RSRC3_GFX90A:ACCUM_OFFSET: 12
; COMPUTE_PGM_RSRC3_GFX90A:TG_SPLIT: 0
	.section	.text._ZN7rocprim17ROCPRIM_304000_NS6detail33device_block_merge_oddeven_kernelINS1_37wrapped_merge_sort_block_merge_configINS0_14default_configEmN2at4cuda3cub6detail10OpaqueTypeILi8EEEEEPmSC_PSA_SD_jNS1_19radix_merge_compareILb1ELb0EmNS0_19identity_decomposerEEEEEvT0_T1_T2_T3_T4_SL_T5_,"axG",@progbits,_ZN7rocprim17ROCPRIM_304000_NS6detail33device_block_merge_oddeven_kernelINS1_37wrapped_merge_sort_block_merge_configINS0_14default_configEmN2at4cuda3cub6detail10OpaqueTypeILi8EEEEEPmSC_PSA_SD_jNS1_19radix_merge_compareILb1ELb0EmNS0_19identity_decomposerEEEEEvT0_T1_T2_T3_T4_SL_T5_,comdat
	.protected	_ZN7rocprim17ROCPRIM_304000_NS6detail33device_block_merge_oddeven_kernelINS1_37wrapped_merge_sort_block_merge_configINS0_14default_configEmN2at4cuda3cub6detail10OpaqueTypeILi8EEEEEPmSC_PSA_SD_jNS1_19radix_merge_compareILb1ELb0EmNS0_19identity_decomposerEEEEEvT0_T1_T2_T3_T4_SL_T5_ ; -- Begin function _ZN7rocprim17ROCPRIM_304000_NS6detail33device_block_merge_oddeven_kernelINS1_37wrapped_merge_sort_block_merge_configINS0_14default_configEmN2at4cuda3cub6detail10OpaqueTypeILi8EEEEEPmSC_PSA_SD_jNS1_19radix_merge_compareILb1ELb0EmNS0_19identity_decomposerEEEEEvT0_T1_T2_T3_T4_SL_T5_
	.globl	_ZN7rocprim17ROCPRIM_304000_NS6detail33device_block_merge_oddeven_kernelINS1_37wrapped_merge_sort_block_merge_configINS0_14default_configEmN2at4cuda3cub6detail10OpaqueTypeILi8EEEEEPmSC_PSA_SD_jNS1_19radix_merge_compareILb1ELb0EmNS0_19identity_decomposerEEEEEvT0_T1_T2_T3_T4_SL_T5_
	.p2align	8
	.type	_ZN7rocprim17ROCPRIM_304000_NS6detail33device_block_merge_oddeven_kernelINS1_37wrapped_merge_sort_block_merge_configINS0_14default_configEmN2at4cuda3cub6detail10OpaqueTypeILi8EEEEEPmSC_PSA_SD_jNS1_19radix_merge_compareILb1ELb0EmNS0_19identity_decomposerEEEEEvT0_T1_T2_T3_T4_SL_T5_,@function
_ZN7rocprim17ROCPRIM_304000_NS6detail33device_block_merge_oddeven_kernelINS1_37wrapped_merge_sort_block_merge_configINS0_14default_configEmN2at4cuda3cub6detail10OpaqueTypeILi8EEEEEPmSC_PSA_SD_jNS1_19radix_merge_compareILb1ELb0EmNS0_19identity_decomposerEEEEEvT0_T1_T2_T3_T4_SL_T5_: ; @_ZN7rocprim17ROCPRIM_304000_NS6detail33device_block_merge_oddeven_kernelINS1_37wrapped_merge_sort_block_merge_configINS0_14default_configEmN2at4cuda3cub6detail10OpaqueTypeILi8EEEEEPmSC_PSA_SD_jNS1_19radix_merge_compareILb1ELb0EmNS0_19identity_decomposerEEEEEvT0_T1_T2_T3_T4_SL_T5_
; %bb.0:
	s_load_dwordx2 s[16:17], s[0:1], 0x20
	s_waitcnt lgkmcnt(0)
	s_lshr_b32 s3, s16, 8
	s_cmp_eq_u32 s2, s3
	s_cselect_b64 s[6:7], -1, 0
	s_cmp_lg_u32 s2, s3
	s_cselect_b64 s[8:9], -1, 0
	s_lshl_b32 s18, s2, 8
	s_sub_i32 s3, s16, s18
	v_cmp_gt_u32_e64 s[4:5], s3, v0
	s_or_b64 s[8:9], s[8:9], s[4:5]
	s_and_saveexec_b64 s[10:11], s[8:9]
	s_cbranch_execz .LBB4_24
; %bb.1:
	s_load_dwordx8 s[8:15], s[0:1], 0x0
	s_mov_b32 s19, 0
	s_lshl_b64 s[0:1], s[18:19], 3
	v_lshlrev_b32_e32 v1, 3, v0
	v_add_u32_e32 v0, s18, v0
	s_waitcnt lgkmcnt(0)
	s_add_u32 s20, s8, s0
	s_addc_u32 s21, s9, s1
	s_add_u32 s0, s12, s0
	s_addc_u32 s1, s13, s1
	global_load_dwordx2 v[2:3], v1, s[0:1]
	global_load_dwordx2 v[4:5], v1, s[20:21]
	s_lshr_b32 s0, s17, 8
	s_sub_i32 s1, 0, s0
	s_and_b32 s1, s2, s1
	s_and_b32 s0, s1, s0
	s_lshl_b32 s19, s1, 8
	s_sub_i32 s12, 0, s17
	s_cmp_eq_u32 s0, 0
	s_cselect_b64 s[0:1], -1, 0
	s_and_b64 s[2:3], s[0:1], exec
	s_cselect_b32 s12, s17, s12
	s_add_i32 s12, s12, s19
	s_mov_b64 s[2:3], -1
	s_cmp_gt_u32 s16, s12
	s_cbranch_scc1 .LBB4_9
; %bb.2:
	s_and_b64 vcc, exec, s[6:7]
	s_cbranch_vccz .LBB4_6
; %bb.3:
	v_cmp_gt_u32_e32 vcc, s16, v0
	s_and_saveexec_b64 s[2:3], vcc
	s_cbranch_execz .LBB4_5
; %bb.4:
	v_mov_b32_e32 v1, 0
	v_lshlrev_b64 v[6:7], 3, v[0:1]
	v_lshl_add_u64 v[8:9], s[14:15], 0, v[6:7]
	v_lshl_add_u64 v[6:7], s[10:11], 0, v[6:7]
	s_waitcnt vmcnt(0)
	global_store_dwordx2 v[6:7], v[4:5], off
	global_store_dwordx2 v[8:9], v[2:3], off
.LBB4_5:
	s_or_b64 exec, exec, s[2:3]
	s_mov_b64 s[2:3], 0
.LBB4_6:
	s_andn2_b64 vcc, exec, s[2:3]
	s_cbranch_vccnz .LBB4_8
; %bb.7:
	v_mov_b32_e32 v1, 0
	v_lshlrev_b64 v[6:7], 3, v[0:1]
	v_lshl_add_u64 v[8:9], s[10:11], 0, v[6:7]
	v_lshl_add_u64 v[6:7], s[14:15], 0, v[6:7]
	s_waitcnt vmcnt(0)
	global_store_dwordx2 v[8:9], v[4:5], off
	global_store_dwordx2 v[6:7], v[2:3], off
.LBB4_8:
	s_mov_b64 s[2:3], 0
.LBB4_9:
	s_andn2_b64 vcc, exec, s[2:3]
	s_cbranch_vccnz .LBB4_24
; %bb.10:
	s_min_u32 s13, s12, s16
	s_add_i32 s2, s13, s17
	s_min_u32 s16, s2, s16
	s_min_u32 s2, s19, s13
	s_add_i32 s19, s19, s13
	v_subrev_u32_e32 v0, s19, v0
	v_add_u32_e32 v6, s2, v0
	s_andn2_b64 vcc, exec, s[6:7]
	s_mov_b64 s[2:3], -1
	s_cbranch_vccnz .LBB4_18
; %bb.11:
	s_and_saveexec_b64 s[2:3], s[4:5]
	s_cbranch_execz .LBB4_17
; %bb.12:
	s_cmp_ge_u32 s12, s16
	v_mov_b32_e32 v7, s13
	s_cbranch_scc1 .LBB4_16
; %bb.13:
	s_mov_b64 s[4:5], 0
	v_mov_b32_e32 v8, s16
	v_mov_b32_e32 v7, s13
	;; [unrolled: 1-line block ×3, first 2 shown]
.LBB4_14:                               ; =>This Inner Loop Header: Depth=1
	v_add_u32_e32 v0, v7, v8
	v_lshrrev_b32_e32 v0, 1, v0
	v_lshl_add_u64 v[10:11], v[0:1], 3, s[8:9]
	global_load_dwordx2 v[10:11], v[10:11], off
	v_add_u32_e32 v9, 1, v0
	s_waitcnt vmcnt(0)
	v_cmp_gt_u64_e32 vcc, v[10:11], v[4:5]
	s_nop 1
	v_cndmask_b32_e64 v12, 0, 1, vcc
	v_cmp_le_u64_e32 vcc, v[4:5], v[10:11]
	s_nop 1
	v_cndmask_b32_e64 v10, 0, 1, vcc
	v_cndmask_b32_e64 v10, v10, v12, s[0:1]
	v_and_b32_e32 v10, 1, v10
	v_cmp_eq_u32_e32 vcc, 1, v10
	s_nop 1
	v_cndmask_b32_e32 v8, v0, v8, vcc
	v_cndmask_b32_e32 v7, v7, v9, vcc
	v_cmp_ge_u32_e32 vcc, v7, v8
	s_or_b64 s[4:5], vcc, s[4:5]
	s_andn2_b64 exec, exec, s[4:5]
	s_cbranch_execnz .LBB4_14
; %bb.15:
	s_or_b64 exec, exec, s[4:5]
.LBB4_16:
	v_add_u32_e32 v0, v7, v6
	v_mov_b32_e32 v1, 0
	v_lshlrev_b64 v[0:1], 3, v[0:1]
	v_lshl_add_u64 v[8:9], s[10:11], 0, v[0:1]
	v_lshl_add_u64 v[0:1], s[14:15], 0, v[0:1]
	s_waitcnt vmcnt(0)
	global_store_dwordx2 v[8:9], v[4:5], off
	global_store_dwordx2 v[0:1], v[2:3], off
.LBB4_17:
	s_or_b64 exec, exec, s[2:3]
	s_mov_b64 s[2:3], 0
.LBB4_18:
	s_andn2_b64 vcc, exec, s[2:3]
	s_cbranch_vccnz .LBB4_24
; %bb.19:
	s_cmp_ge_u32 s12, s16
	v_mov_b32_e32 v7, s13
	s_cbranch_scc1 .LBB4_23
; %bb.20:
	s_mov_b64 s[2:3], 0
	v_mov_b32_e32 v8, s16
	v_mov_b32_e32 v7, s13
	;; [unrolled: 1-line block ×3, first 2 shown]
.LBB4_21:                               ; =>This Inner Loop Header: Depth=1
	v_add_u32_e32 v0, v7, v8
	v_lshrrev_b32_e32 v0, 1, v0
	v_lshl_add_u64 v[10:11], v[0:1], 3, s[8:9]
	global_load_dwordx2 v[10:11], v[10:11], off
	v_add_u32_e32 v9, 1, v0
	s_waitcnt vmcnt(0)
	v_cmp_gt_u64_e32 vcc, v[10:11], v[4:5]
	s_nop 1
	v_cndmask_b32_e64 v12, 0, 1, vcc
	v_cmp_le_u64_e32 vcc, v[4:5], v[10:11]
	s_nop 1
	v_cndmask_b32_e64 v10, 0, 1, vcc
	v_cndmask_b32_e64 v10, v10, v12, s[0:1]
	v_and_b32_e32 v10, 1, v10
	v_cmp_eq_u32_e32 vcc, 1, v10
	s_nop 1
	v_cndmask_b32_e32 v8, v0, v8, vcc
	v_cndmask_b32_e32 v7, v7, v9, vcc
	v_cmp_ge_u32_e32 vcc, v7, v8
	s_or_b64 s[2:3], vcc, s[2:3]
	s_andn2_b64 exec, exec, s[2:3]
	s_cbranch_execnz .LBB4_21
; %bb.22:
	s_or_b64 exec, exec, s[2:3]
.LBB4_23:
	v_add_u32_e32 v0, v7, v6
	v_mov_b32_e32 v1, 0
	v_lshlrev_b64 v[0:1], 3, v[0:1]
	v_lshl_add_u64 v[6:7], s[10:11], 0, v[0:1]
	v_lshl_add_u64 v[0:1], s[14:15], 0, v[0:1]
	s_waitcnt vmcnt(0)
	global_store_dwordx2 v[6:7], v[4:5], off
	global_store_dwordx2 v[0:1], v[2:3], off
.LBB4_24:
	s_endpgm
	.section	.rodata,"a",@progbits
	.p2align	6, 0x0
	.amdhsa_kernel _ZN7rocprim17ROCPRIM_304000_NS6detail33device_block_merge_oddeven_kernelINS1_37wrapped_merge_sort_block_merge_configINS0_14default_configEmN2at4cuda3cub6detail10OpaqueTypeILi8EEEEEPmSC_PSA_SD_jNS1_19radix_merge_compareILb1ELb0EmNS0_19identity_decomposerEEEEEvT0_T1_T2_T3_T4_SL_T5_
		.amdhsa_group_segment_fixed_size 0
		.amdhsa_private_segment_fixed_size 0
		.amdhsa_kernarg_size 44
		.amdhsa_user_sgpr_count 2
		.amdhsa_user_sgpr_dispatch_ptr 0
		.amdhsa_user_sgpr_queue_ptr 0
		.amdhsa_user_sgpr_kernarg_segment_ptr 1
		.amdhsa_user_sgpr_dispatch_id 0
		.amdhsa_user_sgpr_kernarg_preload_length 0
		.amdhsa_user_sgpr_kernarg_preload_offset 0
		.amdhsa_user_sgpr_private_segment_size 0
		.amdhsa_uses_dynamic_stack 0
		.amdhsa_enable_private_segment 0
		.amdhsa_system_sgpr_workgroup_id_x 1
		.amdhsa_system_sgpr_workgroup_id_y 0
		.amdhsa_system_sgpr_workgroup_id_z 0
		.amdhsa_system_sgpr_workgroup_info 0
		.amdhsa_system_vgpr_workitem_id 0
		.amdhsa_next_free_vgpr 13
		.amdhsa_next_free_sgpr 22
		.amdhsa_accum_offset 16
		.amdhsa_reserve_vcc 1
		.amdhsa_float_round_mode_32 0
		.amdhsa_float_round_mode_16_64 0
		.amdhsa_float_denorm_mode_32 3
		.amdhsa_float_denorm_mode_16_64 3
		.amdhsa_dx10_clamp 1
		.amdhsa_ieee_mode 1
		.amdhsa_fp16_overflow 0
		.amdhsa_tg_split 0
		.amdhsa_exception_fp_ieee_invalid_op 0
		.amdhsa_exception_fp_denorm_src 0
		.amdhsa_exception_fp_ieee_div_zero 0
		.amdhsa_exception_fp_ieee_overflow 0
		.amdhsa_exception_fp_ieee_underflow 0
		.amdhsa_exception_fp_ieee_inexact 0
		.amdhsa_exception_int_div_zero 0
	.end_amdhsa_kernel
	.section	.text._ZN7rocprim17ROCPRIM_304000_NS6detail33device_block_merge_oddeven_kernelINS1_37wrapped_merge_sort_block_merge_configINS0_14default_configEmN2at4cuda3cub6detail10OpaqueTypeILi8EEEEEPmSC_PSA_SD_jNS1_19radix_merge_compareILb1ELb0EmNS0_19identity_decomposerEEEEEvT0_T1_T2_T3_T4_SL_T5_,"axG",@progbits,_ZN7rocprim17ROCPRIM_304000_NS6detail33device_block_merge_oddeven_kernelINS1_37wrapped_merge_sort_block_merge_configINS0_14default_configEmN2at4cuda3cub6detail10OpaqueTypeILi8EEEEEPmSC_PSA_SD_jNS1_19radix_merge_compareILb1ELb0EmNS0_19identity_decomposerEEEEEvT0_T1_T2_T3_T4_SL_T5_,comdat
.Lfunc_end4:
	.size	_ZN7rocprim17ROCPRIM_304000_NS6detail33device_block_merge_oddeven_kernelINS1_37wrapped_merge_sort_block_merge_configINS0_14default_configEmN2at4cuda3cub6detail10OpaqueTypeILi8EEEEEPmSC_PSA_SD_jNS1_19radix_merge_compareILb1ELb0EmNS0_19identity_decomposerEEEEEvT0_T1_T2_T3_T4_SL_T5_, .Lfunc_end4-_ZN7rocprim17ROCPRIM_304000_NS6detail33device_block_merge_oddeven_kernelINS1_37wrapped_merge_sort_block_merge_configINS0_14default_configEmN2at4cuda3cub6detail10OpaqueTypeILi8EEEEEPmSC_PSA_SD_jNS1_19radix_merge_compareILb1ELb0EmNS0_19identity_decomposerEEEEEvT0_T1_T2_T3_T4_SL_T5_
                                        ; -- End function
	.set _ZN7rocprim17ROCPRIM_304000_NS6detail33device_block_merge_oddeven_kernelINS1_37wrapped_merge_sort_block_merge_configINS0_14default_configEmN2at4cuda3cub6detail10OpaqueTypeILi8EEEEEPmSC_PSA_SD_jNS1_19radix_merge_compareILb1ELb0EmNS0_19identity_decomposerEEEEEvT0_T1_T2_T3_T4_SL_T5_.num_vgpr, 13
	.set _ZN7rocprim17ROCPRIM_304000_NS6detail33device_block_merge_oddeven_kernelINS1_37wrapped_merge_sort_block_merge_configINS0_14default_configEmN2at4cuda3cub6detail10OpaqueTypeILi8EEEEEPmSC_PSA_SD_jNS1_19radix_merge_compareILb1ELb0EmNS0_19identity_decomposerEEEEEvT0_T1_T2_T3_T4_SL_T5_.num_agpr, 0
	.set _ZN7rocprim17ROCPRIM_304000_NS6detail33device_block_merge_oddeven_kernelINS1_37wrapped_merge_sort_block_merge_configINS0_14default_configEmN2at4cuda3cub6detail10OpaqueTypeILi8EEEEEPmSC_PSA_SD_jNS1_19radix_merge_compareILb1ELb0EmNS0_19identity_decomposerEEEEEvT0_T1_T2_T3_T4_SL_T5_.numbered_sgpr, 22
	.set _ZN7rocprim17ROCPRIM_304000_NS6detail33device_block_merge_oddeven_kernelINS1_37wrapped_merge_sort_block_merge_configINS0_14default_configEmN2at4cuda3cub6detail10OpaqueTypeILi8EEEEEPmSC_PSA_SD_jNS1_19radix_merge_compareILb1ELb0EmNS0_19identity_decomposerEEEEEvT0_T1_T2_T3_T4_SL_T5_.num_named_barrier, 0
	.set _ZN7rocprim17ROCPRIM_304000_NS6detail33device_block_merge_oddeven_kernelINS1_37wrapped_merge_sort_block_merge_configINS0_14default_configEmN2at4cuda3cub6detail10OpaqueTypeILi8EEEEEPmSC_PSA_SD_jNS1_19radix_merge_compareILb1ELb0EmNS0_19identity_decomposerEEEEEvT0_T1_T2_T3_T4_SL_T5_.private_seg_size, 0
	.set _ZN7rocprim17ROCPRIM_304000_NS6detail33device_block_merge_oddeven_kernelINS1_37wrapped_merge_sort_block_merge_configINS0_14default_configEmN2at4cuda3cub6detail10OpaqueTypeILi8EEEEEPmSC_PSA_SD_jNS1_19radix_merge_compareILb1ELb0EmNS0_19identity_decomposerEEEEEvT0_T1_T2_T3_T4_SL_T5_.uses_vcc, 1
	.set _ZN7rocprim17ROCPRIM_304000_NS6detail33device_block_merge_oddeven_kernelINS1_37wrapped_merge_sort_block_merge_configINS0_14default_configEmN2at4cuda3cub6detail10OpaqueTypeILi8EEEEEPmSC_PSA_SD_jNS1_19radix_merge_compareILb1ELb0EmNS0_19identity_decomposerEEEEEvT0_T1_T2_T3_T4_SL_T5_.uses_flat_scratch, 0
	.set _ZN7rocprim17ROCPRIM_304000_NS6detail33device_block_merge_oddeven_kernelINS1_37wrapped_merge_sort_block_merge_configINS0_14default_configEmN2at4cuda3cub6detail10OpaqueTypeILi8EEEEEPmSC_PSA_SD_jNS1_19radix_merge_compareILb1ELb0EmNS0_19identity_decomposerEEEEEvT0_T1_T2_T3_T4_SL_T5_.has_dyn_sized_stack, 0
	.set _ZN7rocprim17ROCPRIM_304000_NS6detail33device_block_merge_oddeven_kernelINS1_37wrapped_merge_sort_block_merge_configINS0_14default_configEmN2at4cuda3cub6detail10OpaqueTypeILi8EEEEEPmSC_PSA_SD_jNS1_19radix_merge_compareILb1ELb0EmNS0_19identity_decomposerEEEEEvT0_T1_T2_T3_T4_SL_T5_.has_recursion, 0
	.set _ZN7rocprim17ROCPRIM_304000_NS6detail33device_block_merge_oddeven_kernelINS1_37wrapped_merge_sort_block_merge_configINS0_14default_configEmN2at4cuda3cub6detail10OpaqueTypeILi8EEEEEPmSC_PSA_SD_jNS1_19radix_merge_compareILb1ELb0EmNS0_19identity_decomposerEEEEEvT0_T1_T2_T3_T4_SL_T5_.has_indirect_call, 0
	.section	.AMDGPU.csdata,"",@progbits
; Kernel info:
; codeLenInByte = 772
; TotalNumSgprs: 28
; NumVgprs: 13
; NumAgprs: 0
; TotalNumVgprs: 13
; ScratchSize: 0
; MemoryBound: 0
; FloatMode: 240
; IeeeMode: 1
; LDSByteSize: 0 bytes/workgroup (compile time only)
; SGPRBlocks: 3
; VGPRBlocks: 1
; NumSGPRsForWavesPerEU: 28
; NumVGPRsForWavesPerEU: 13
; AccumOffset: 16
; Occupancy: 8
; WaveLimiterHint : 0
; COMPUTE_PGM_RSRC2:SCRATCH_EN: 0
; COMPUTE_PGM_RSRC2:USER_SGPR: 2
; COMPUTE_PGM_RSRC2:TRAP_HANDLER: 0
; COMPUTE_PGM_RSRC2:TGID_X_EN: 1
; COMPUTE_PGM_RSRC2:TGID_Y_EN: 0
; COMPUTE_PGM_RSRC2:TGID_Z_EN: 0
; COMPUTE_PGM_RSRC2:TIDIG_COMP_CNT: 0
; COMPUTE_PGM_RSRC3_GFX90A:ACCUM_OFFSET: 3
; COMPUTE_PGM_RSRC3_GFX90A:TG_SPLIT: 0
	.section	.text._ZN7rocprim17ROCPRIM_304000_NS6detail16transform_kernelINS1_24wrapped_transform_configINS0_14default_configEmEEmPmS6_NS0_8identityImEEEEvT1_mT2_T3_,"axG",@progbits,_ZN7rocprim17ROCPRIM_304000_NS6detail16transform_kernelINS1_24wrapped_transform_configINS0_14default_configEmEEmPmS6_NS0_8identityImEEEEvT1_mT2_T3_,comdat
	.protected	_ZN7rocprim17ROCPRIM_304000_NS6detail16transform_kernelINS1_24wrapped_transform_configINS0_14default_configEmEEmPmS6_NS0_8identityImEEEEvT1_mT2_T3_ ; -- Begin function _ZN7rocprim17ROCPRIM_304000_NS6detail16transform_kernelINS1_24wrapped_transform_configINS0_14default_configEmEEmPmS6_NS0_8identityImEEEEvT1_mT2_T3_
	.globl	_ZN7rocprim17ROCPRIM_304000_NS6detail16transform_kernelINS1_24wrapped_transform_configINS0_14default_configEmEEmPmS6_NS0_8identityImEEEEvT1_mT2_T3_
	.p2align	8
	.type	_ZN7rocprim17ROCPRIM_304000_NS6detail16transform_kernelINS1_24wrapped_transform_configINS0_14default_configEmEEmPmS6_NS0_8identityImEEEEvT1_mT2_T3_,@function
_ZN7rocprim17ROCPRIM_304000_NS6detail16transform_kernelINS1_24wrapped_transform_configINS0_14default_configEmEEmPmS6_NS0_8identityImEEEEvT1_mT2_T3_: ; @_ZN7rocprim17ROCPRIM_304000_NS6detail16transform_kernelINS1_24wrapped_transform_configINS0_14default_configEmEEmPmS6_NS0_8identityImEEEEvT1_mT2_T3_
; %bb.0:
	s_load_dword s3, s[0:1], 0x20
	s_load_dwordx4 s[4:7], s[0:1], 0x0
	s_lshl_b32 s8, s2, 7
	s_waitcnt lgkmcnt(0)
	s_add_i32 s3, s3, -1
	s_cmp_lg_u32 s2, s3
	s_cselect_b64 s[2:3], -1, 0
	s_sub_i32 s6, s6, s8
	v_cmp_gt_u32_e32 vcc, s6, v0
	s_or_b64 s[2:3], vcc, s[2:3]
	s_and_saveexec_b64 s[6:7], s[2:3]
	s_cbranch_execz .LBB5_2
; %bb.1:
	s_load_dwordx2 s[0:1], s[0:1], 0x10
	s_mov_b32 s9, 0
	s_lshl_b64 s[2:3], s[8:9], 3
	v_lshlrev_b32_e32 v2, 3, v0
	s_waitcnt lgkmcnt(0)
	s_add_u32 s0, s0, s2
	s_addc_u32 s1, s1, s3
	s_add_u32 s2, s4, s2
	s_addc_u32 s3, s5, s3
	global_load_dwordx2 v[0:1], v2, s[2:3]
	s_waitcnt vmcnt(0)
	global_store_dwordx2 v2, v[0:1], s[0:1]
.LBB5_2:
	s_endpgm
	.section	.rodata,"a",@progbits
	.p2align	6, 0x0
	.amdhsa_kernel _ZN7rocprim17ROCPRIM_304000_NS6detail16transform_kernelINS1_24wrapped_transform_configINS0_14default_configEmEEmPmS6_NS0_8identityImEEEEvT1_mT2_T3_
		.amdhsa_group_segment_fixed_size 0
		.amdhsa_private_segment_fixed_size 0
		.amdhsa_kernarg_size 288
		.amdhsa_user_sgpr_count 2
		.amdhsa_user_sgpr_dispatch_ptr 0
		.amdhsa_user_sgpr_queue_ptr 0
		.amdhsa_user_sgpr_kernarg_segment_ptr 1
		.amdhsa_user_sgpr_dispatch_id 0
		.amdhsa_user_sgpr_kernarg_preload_length 0
		.amdhsa_user_sgpr_kernarg_preload_offset 0
		.amdhsa_user_sgpr_private_segment_size 0
		.amdhsa_uses_dynamic_stack 0
		.amdhsa_enable_private_segment 0
		.amdhsa_system_sgpr_workgroup_id_x 1
		.amdhsa_system_sgpr_workgroup_id_y 0
		.amdhsa_system_sgpr_workgroup_id_z 0
		.amdhsa_system_sgpr_workgroup_info 0
		.amdhsa_system_vgpr_workitem_id 0
		.amdhsa_next_free_vgpr 3
		.amdhsa_next_free_sgpr 10
		.amdhsa_accum_offset 4
		.amdhsa_reserve_vcc 1
		.amdhsa_float_round_mode_32 0
		.amdhsa_float_round_mode_16_64 0
		.amdhsa_float_denorm_mode_32 3
		.amdhsa_float_denorm_mode_16_64 3
		.amdhsa_dx10_clamp 1
		.amdhsa_ieee_mode 1
		.amdhsa_fp16_overflow 0
		.amdhsa_tg_split 0
		.amdhsa_exception_fp_ieee_invalid_op 0
		.amdhsa_exception_fp_denorm_src 0
		.amdhsa_exception_fp_ieee_div_zero 0
		.amdhsa_exception_fp_ieee_overflow 0
		.amdhsa_exception_fp_ieee_underflow 0
		.amdhsa_exception_fp_ieee_inexact 0
		.amdhsa_exception_int_div_zero 0
	.end_amdhsa_kernel
	.section	.text._ZN7rocprim17ROCPRIM_304000_NS6detail16transform_kernelINS1_24wrapped_transform_configINS0_14default_configEmEEmPmS6_NS0_8identityImEEEEvT1_mT2_T3_,"axG",@progbits,_ZN7rocprim17ROCPRIM_304000_NS6detail16transform_kernelINS1_24wrapped_transform_configINS0_14default_configEmEEmPmS6_NS0_8identityImEEEEvT1_mT2_T3_,comdat
.Lfunc_end5:
	.size	_ZN7rocprim17ROCPRIM_304000_NS6detail16transform_kernelINS1_24wrapped_transform_configINS0_14default_configEmEEmPmS6_NS0_8identityImEEEEvT1_mT2_T3_, .Lfunc_end5-_ZN7rocprim17ROCPRIM_304000_NS6detail16transform_kernelINS1_24wrapped_transform_configINS0_14default_configEmEEmPmS6_NS0_8identityImEEEEvT1_mT2_T3_
                                        ; -- End function
	.set _ZN7rocprim17ROCPRIM_304000_NS6detail16transform_kernelINS1_24wrapped_transform_configINS0_14default_configEmEEmPmS6_NS0_8identityImEEEEvT1_mT2_T3_.num_vgpr, 3
	.set _ZN7rocprim17ROCPRIM_304000_NS6detail16transform_kernelINS1_24wrapped_transform_configINS0_14default_configEmEEmPmS6_NS0_8identityImEEEEvT1_mT2_T3_.num_agpr, 0
	.set _ZN7rocprim17ROCPRIM_304000_NS6detail16transform_kernelINS1_24wrapped_transform_configINS0_14default_configEmEEmPmS6_NS0_8identityImEEEEvT1_mT2_T3_.numbered_sgpr, 10
	.set _ZN7rocprim17ROCPRIM_304000_NS6detail16transform_kernelINS1_24wrapped_transform_configINS0_14default_configEmEEmPmS6_NS0_8identityImEEEEvT1_mT2_T3_.num_named_barrier, 0
	.set _ZN7rocprim17ROCPRIM_304000_NS6detail16transform_kernelINS1_24wrapped_transform_configINS0_14default_configEmEEmPmS6_NS0_8identityImEEEEvT1_mT2_T3_.private_seg_size, 0
	.set _ZN7rocprim17ROCPRIM_304000_NS6detail16transform_kernelINS1_24wrapped_transform_configINS0_14default_configEmEEmPmS6_NS0_8identityImEEEEvT1_mT2_T3_.uses_vcc, 1
	.set _ZN7rocprim17ROCPRIM_304000_NS6detail16transform_kernelINS1_24wrapped_transform_configINS0_14default_configEmEEmPmS6_NS0_8identityImEEEEvT1_mT2_T3_.uses_flat_scratch, 0
	.set _ZN7rocprim17ROCPRIM_304000_NS6detail16transform_kernelINS1_24wrapped_transform_configINS0_14default_configEmEEmPmS6_NS0_8identityImEEEEvT1_mT2_T3_.has_dyn_sized_stack, 0
	.set _ZN7rocprim17ROCPRIM_304000_NS6detail16transform_kernelINS1_24wrapped_transform_configINS0_14default_configEmEEmPmS6_NS0_8identityImEEEEvT1_mT2_T3_.has_recursion, 0
	.set _ZN7rocprim17ROCPRIM_304000_NS6detail16transform_kernelINS1_24wrapped_transform_configINS0_14default_configEmEEmPmS6_NS0_8identityImEEEEvT1_mT2_T3_.has_indirect_call, 0
	.section	.AMDGPU.csdata,"",@progbits
; Kernel info:
; codeLenInByte = 120
; TotalNumSgprs: 16
; NumVgprs: 3
; NumAgprs: 0
; TotalNumVgprs: 3
; ScratchSize: 0
; MemoryBound: 0
; FloatMode: 240
; IeeeMode: 1
; LDSByteSize: 0 bytes/workgroup (compile time only)
; SGPRBlocks: 1
; VGPRBlocks: 0
; NumSGPRsForWavesPerEU: 16
; NumVGPRsForWavesPerEU: 3
; AccumOffset: 4
; Occupancy: 8
; WaveLimiterHint : 0
; COMPUTE_PGM_RSRC2:SCRATCH_EN: 0
; COMPUTE_PGM_RSRC2:USER_SGPR: 2
; COMPUTE_PGM_RSRC2:TRAP_HANDLER: 0
; COMPUTE_PGM_RSRC2:TGID_X_EN: 1
; COMPUTE_PGM_RSRC2:TGID_Y_EN: 0
; COMPUTE_PGM_RSRC2:TGID_Z_EN: 0
; COMPUTE_PGM_RSRC2:TIDIG_COMP_CNT: 0
; COMPUTE_PGM_RSRC3_GFX90A:ACCUM_OFFSET: 0
; COMPUTE_PGM_RSRC3_GFX90A:TG_SPLIT: 0
	.section	.text._ZN7rocprim17ROCPRIM_304000_NS6detail16transform_kernelINS1_24wrapped_transform_configINS0_14default_configEN2at4cuda3cub6detail10OpaqueTypeILi8EEEEESA_PSA_SC_NS0_8identityISA_EEEEvT1_mT2_T3_,"axG",@progbits,_ZN7rocprim17ROCPRIM_304000_NS6detail16transform_kernelINS1_24wrapped_transform_configINS0_14default_configEN2at4cuda3cub6detail10OpaqueTypeILi8EEEEESA_PSA_SC_NS0_8identityISA_EEEEvT1_mT2_T3_,comdat
	.protected	_ZN7rocprim17ROCPRIM_304000_NS6detail16transform_kernelINS1_24wrapped_transform_configINS0_14default_configEN2at4cuda3cub6detail10OpaqueTypeILi8EEEEESA_PSA_SC_NS0_8identityISA_EEEEvT1_mT2_T3_ ; -- Begin function _ZN7rocprim17ROCPRIM_304000_NS6detail16transform_kernelINS1_24wrapped_transform_configINS0_14default_configEN2at4cuda3cub6detail10OpaqueTypeILi8EEEEESA_PSA_SC_NS0_8identityISA_EEEEvT1_mT2_T3_
	.globl	_ZN7rocprim17ROCPRIM_304000_NS6detail16transform_kernelINS1_24wrapped_transform_configINS0_14default_configEN2at4cuda3cub6detail10OpaqueTypeILi8EEEEESA_PSA_SC_NS0_8identityISA_EEEEvT1_mT2_T3_
	.p2align	8
	.type	_ZN7rocprim17ROCPRIM_304000_NS6detail16transform_kernelINS1_24wrapped_transform_configINS0_14default_configEN2at4cuda3cub6detail10OpaqueTypeILi8EEEEESA_PSA_SC_NS0_8identityISA_EEEEvT1_mT2_T3_,@function
_ZN7rocprim17ROCPRIM_304000_NS6detail16transform_kernelINS1_24wrapped_transform_configINS0_14default_configEN2at4cuda3cub6detail10OpaqueTypeILi8EEEEESA_PSA_SC_NS0_8identityISA_EEEEvT1_mT2_T3_: ; @_ZN7rocprim17ROCPRIM_304000_NS6detail16transform_kernelINS1_24wrapped_transform_configINS0_14default_configEN2at4cuda3cub6detail10OpaqueTypeILi8EEEEESA_PSA_SC_NS0_8identityISA_EEEEvT1_mT2_T3_
; %bb.0:
	s_load_dword s3, s[0:1], 0x20
	s_load_dwordx4 s[4:7], s[0:1], 0x0
	s_lshl_b32 s8, s2, 7
	s_waitcnt lgkmcnt(0)
	s_add_i32 s3, s3, -1
	s_cmp_lg_u32 s2, s3
	s_cselect_b64 s[2:3], -1, 0
	s_sub_i32 s6, s6, s8
	v_cmp_gt_u32_e32 vcc, s6, v0
	s_or_b64 s[2:3], vcc, s[2:3]
	s_and_saveexec_b64 s[6:7], s[2:3]
	s_cbranch_execz .LBB6_2
; %bb.1:
	s_load_dwordx2 s[0:1], s[0:1], 0x10
	s_mov_b32 s9, 0
	s_lshl_b64 s[2:3], s[8:9], 3
	v_lshlrev_b32_e32 v2, 3, v0
	s_waitcnt lgkmcnt(0)
	s_add_u32 s0, s0, s2
	s_addc_u32 s1, s1, s3
	s_add_u32 s2, s4, s2
	s_addc_u32 s3, s5, s3
	global_load_dwordx2 v[0:1], v2, s[2:3]
	s_waitcnt vmcnt(0)
	global_store_dwordx2 v2, v[0:1], s[0:1]
.LBB6_2:
	s_endpgm
	.section	.rodata,"a",@progbits
	.p2align	6, 0x0
	.amdhsa_kernel _ZN7rocprim17ROCPRIM_304000_NS6detail16transform_kernelINS1_24wrapped_transform_configINS0_14default_configEN2at4cuda3cub6detail10OpaqueTypeILi8EEEEESA_PSA_SC_NS0_8identityISA_EEEEvT1_mT2_T3_
		.amdhsa_group_segment_fixed_size 0
		.amdhsa_private_segment_fixed_size 0
		.amdhsa_kernarg_size 288
		.amdhsa_user_sgpr_count 2
		.amdhsa_user_sgpr_dispatch_ptr 0
		.amdhsa_user_sgpr_queue_ptr 0
		.amdhsa_user_sgpr_kernarg_segment_ptr 1
		.amdhsa_user_sgpr_dispatch_id 0
		.amdhsa_user_sgpr_kernarg_preload_length 0
		.amdhsa_user_sgpr_kernarg_preload_offset 0
		.amdhsa_user_sgpr_private_segment_size 0
		.amdhsa_uses_dynamic_stack 0
		.amdhsa_enable_private_segment 0
		.amdhsa_system_sgpr_workgroup_id_x 1
		.amdhsa_system_sgpr_workgroup_id_y 0
		.amdhsa_system_sgpr_workgroup_id_z 0
		.amdhsa_system_sgpr_workgroup_info 0
		.amdhsa_system_vgpr_workitem_id 0
		.amdhsa_next_free_vgpr 3
		.amdhsa_next_free_sgpr 10
		.amdhsa_accum_offset 4
		.amdhsa_reserve_vcc 1
		.amdhsa_float_round_mode_32 0
		.amdhsa_float_round_mode_16_64 0
		.amdhsa_float_denorm_mode_32 3
		.amdhsa_float_denorm_mode_16_64 3
		.amdhsa_dx10_clamp 1
		.amdhsa_ieee_mode 1
		.amdhsa_fp16_overflow 0
		.amdhsa_tg_split 0
		.amdhsa_exception_fp_ieee_invalid_op 0
		.amdhsa_exception_fp_denorm_src 0
		.amdhsa_exception_fp_ieee_div_zero 0
		.amdhsa_exception_fp_ieee_overflow 0
		.amdhsa_exception_fp_ieee_underflow 0
		.amdhsa_exception_fp_ieee_inexact 0
		.amdhsa_exception_int_div_zero 0
	.end_amdhsa_kernel
	.section	.text._ZN7rocprim17ROCPRIM_304000_NS6detail16transform_kernelINS1_24wrapped_transform_configINS0_14default_configEN2at4cuda3cub6detail10OpaqueTypeILi8EEEEESA_PSA_SC_NS0_8identityISA_EEEEvT1_mT2_T3_,"axG",@progbits,_ZN7rocprim17ROCPRIM_304000_NS6detail16transform_kernelINS1_24wrapped_transform_configINS0_14default_configEN2at4cuda3cub6detail10OpaqueTypeILi8EEEEESA_PSA_SC_NS0_8identityISA_EEEEvT1_mT2_T3_,comdat
.Lfunc_end6:
	.size	_ZN7rocprim17ROCPRIM_304000_NS6detail16transform_kernelINS1_24wrapped_transform_configINS0_14default_configEN2at4cuda3cub6detail10OpaqueTypeILi8EEEEESA_PSA_SC_NS0_8identityISA_EEEEvT1_mT2_T3_, .Lfunc_end6-_ZN7rocprim17ROCPRIM_304000_NS6detail16transform_kernelINS1_24wrapped_transform_configINS0_14default_configEN2at4cuda3cub6detail10OpaqueTypeILi8EEEEESA_PSA_SC_NS0_8identityISA_EEEEvT1_mT2_T3_
                                        ; -- End function
	.set _ZN7rocprim17ROCPRIM_304000_NS6detail16transform_kernelINS1_24wrapped_transform_configINS0_14default_configEN2at4cuda3cub6detail10OpaqueTypeILi8EEEEESA_PSA_SC_NS0_8identityISA_EEEEvT1_mT2_T3_.num_vgpr, 3
	.set _ZN7rocprim17ROCPRIM_304000_NS6detail16transform_kernelINS1_24wrapped_transform_configINS0_14default_configEN2at4cuda3cub6detail10OpaqueTypeILi8EEEEESA_PSA_SC_NS0_8identityISA_EEEEvT1_mT2_T3_.num_agpr, 0
	.set _ZN7rocprim17ROCPRIM_304000_NS6detail16transform_kernelINS1_24wrapped_transform_configINS0_14default_configEN2at4cuda3cub6detail10OpaqueTypeILi8EEEEESA_PSA_SC_NS0_8identityISA_EEEEvT1_mT2_T3_.numbered_sgpr, 10
	.set _ZN7rocprim17ROCPRIM_304000_NS6detail16transform_kernelINS1_24wrapped_transform_configINS0_14default_configEN2at4cuda3cub6detail10OpaqueTypeILi8EEEEESA_PSA_SC_NS0_8identityISA_EEEEvT1_mT2_T3_.num_named_barrier, 0
	.set _ZN7rocprim17ROCPRIM_304000_NS6detail16transform_kernelINS1_24wrapped_transform_configINS0_14default_configEN2at4cuda3cub6detail10OpaqueTypeILi8EEEEESA_PSA_SC_NS0_8identityISA_EEEEvT1_mT2_T3_.private_seg_size, 0
	.set _ZN7rocprim17ROCPRIM_304000_NS6detail16transform_kernelINS1_24wrapped_transform_configINS0_14default_configEN2at4cuda3cub6detail10OpaqueTypeILi8EEEEESA_PSA_SC_NS0_8identityISA_EEEEvT1_mT2_T3_.uses_vcc, 1
	.set _ZN7rocprim17ROCPRIM_304000_NS6detail16transform_kernelINS1_24wrapped_transform_configINS0_14default_configEN2at4cuda3cub6detail10OpaqueTypeILi8EEEEESA_PSA_SC_NS0_8identityISA_EEEEvT1_mT2_T3_.uses_flat_scratch, 0
	.set _ZN7rocprim17ROCPRIM_304000_NS6detail16transform_kernelINS1_24wrapped_transform_configINS0_14default_configEN2at4cuda3cub6detail10OpaqueTypeILi8EEEEESA_PSA_SC_NS0_8identityISA_EEEEvT1_mT2_T3_.has_dyn_sized_stack, 0
	.set _ZN7rocprim17ROCPRIM_304000_NS6detail16transform_kernelINS1_24wrapped_transform_configINS0_14default_configEN2at4cuda3cub6detail10OpaqueTypeILi8EEEEESA_PSA_SC_NS0_8identityISA_EEEEvT1_mT2_T3_.has_recursion, 0
	.set _ZN7rocprim17ROCPRIM_304000_NS6detail16transform_kernelINS1_24wrapped_transform_configINS0_14default_configEN2at4cuda3cub6detail10OpaqueTypeILi8EEEEESA_PSA_SC_NS0_8identityISA_EEEEvT1_mT2_T3_.has_indirect_call, 0
	.section	.AMDGPU.csdata,"",@progbits
; Kernel info:
; codeLenInByte = 120
; TotalNumSgprs: 16
; NumVgprs: 3
; NumAgprs: 0
; TotalNumVgprs: 3
; ScratchSize: 0
; MemoryBound: 0
; FloatMode: 240
; IeeeMode: 1
; LDSByteSize: 0 bytes/workgroup (compile time only)
; SGPRBlocks: 1
; VGPRBlocks: 0
; NumSGPRsForWavesPerEU: 16
; NumVGPRsForWavesPerEU: 3
; AccumOffset: 4
; Occupancy: 8
; WaveLimiterHint : 0
; COMPUTE_PGM_RSRC2:SCRATCH_EN: 0
; COMPUTE_PGM_RSRC2:USER_SGPR: 2
; COMPUTE_PGM_RSRC2:TRAP_HANDLER: 0
; COMPUTE_PGM_RSRC2:TGID_X_EN: 1
; COMPUTE_PGM_RSRC2:TGID_Y_EN: 0
; COMPUTE_PGM_RSRC2:TGID_Z_EN: 0
; COMPUTE_PGM_RSRC2:TIDIG_COMP_CNT: 0
; COMPUTE_PGM_RSRC3_GFX90A:ACCUM_OFFSET: 0
; COMPUTE_PGM_RSRC3_GFX90A:TG_SPLIT: 0
	.section	.text._ZN7rocprim17ROCPRIM_304000_NS6detail45device_block_merge_mergepath_partition_kernelINS1_37wrapped_merge_sort_block_merge_configINS0_14default_configEmN2at4cuda3cub6detail10OpaqueTypeILi8EEEEEPmjNS1_19radix_merge_compareILb1ELb1EmNS0_19identity_decomposerEEEEEvT0_T1_jPSH_T2_SH_,"axG",@progbits,_ZN7rocprim17ROCPRIM_304000_NS6detail45device_block_merge_mergepath_partition_kernelINS1_37wrapped_merge_sort_block_merge_configINS0_14default_configEmN2at4cuda3cub6detail10OpaqueTypeILi8EEEEEPmjNS1_19radix_merge_compareILb1ELb1EmNS0_19identity_decomposerEEEEEvT0_T1_jPSH_T2_SH_,comdat
	.protected	_ZN7rocprim17ROCPRIM_304000_NS6detail45device_block_merge_mergepath_partition_kernelINS1_37wrapped_merge_sort_block_merge_configINS0_14default_configEmN2at4cuda3cub6detail10OpaqueTypeILi8EEEEEPmjNS1_19radix_merge_compareILb1ELb1EmNS0_19identity_decomposerEEEEEvT0_T1_jPSH_T2_SH_ ; -- Begin function _ZN7rocprim17ROCPRIM_304000_NS6detail45device_block_merge_mergepath_partition_kernelINS1_37wrapped_merge_sort_block_merge_configINS0_14default_configEmN2at4cuda3cub6detail10OpaqueTypeILi8EEEEEPmjNS1_19radix_merge_compareILb1ELb1EmNS0_19identity_decomposerEEEEEvT0_T1_jPSH_T2_SH_
	.globl	_ZN7rocprim17ROCPRIM_304000_NS6detail45device_block_merge_mergepath_partition_kernelINS1_37wrapped_merge_sort_block_merge_configINS0_14default_configEmN2at4cuda3cub6detail10OpaqueTypeILi8EEEEEPmjNS1_19radix_merge_compareILb1ELb1EmNS0_19identity_decomposerEEEEEvT0_T1_jPSH_T2_SH_
	.p2align	8
	.type	_ZN7rocprim17ROCPRIM_304000_NS6detail45device_block_merge_mergepath_partition_kernelINS1_37wrapped_merge_sort_block_merge_configINS0_14default_configEmN2at4cuda3cub6detail10OpaqueTypeILi8EEEEEPmjNS1_19radix_merge_compareILb1ELb1EmNS0_19identity_decomposerEEEEEvT0_T1_jPSH_T2_SH_,@function
_ZN7rocprim17ROCPRIM_304000_NS6detail45device_block_merge_mergepath_partition_kernelINS1_37wrapped_merge_sort_block_merge_configINS0_14default_configEmN2at4cuda3cub6detail10OpaqueTypeILi8EEEEEPmjNS1_19radix_merge_compareILb1ELb1EmNS0_19identity_decomposerEEEEEvT0_T1_jPSH_T2_SH_: ; @_ZN7rocprim17ROCPRIM_304000_NS6detail45device_block_merge_mergepath_partition_kernelINS1_37wrapped_merge_sort_block_merge_configINS0_14default_configEmN2at4cuda3cub6detail10OpaqueTypeILi8EEEEEPmjNS1_19radix_merge_compareILb1ELb1EmNS0_19identity_decomposerEEEEEvT0_T1_jPSH_T2_SH_
; %bb.0:
	s_load_dwordx2 s[8:9], s[0:1], 0x8
	v_lshl_or_b32 v0, s2, 7, v0
	s_waitcnt lgkmcnt(0)
	v_cmp_gt_u32_e32 vcc, s9, v0
	s_and_saveexec_b64 s[2:3], vcc
	s_cbranch_execz .LBB7_6
; %bb.1:
	s_load_dword s2, s[0:1], 0x20
	s_load_dwordx4 s[4:7], s[0:1], 0x10
	s_waitcnt lgkmcnt(0)
	s_lshr_b32 s3, s2, 9
	s_and_b32 s3, s3, 0x7ffffe
	s_add_i32 s9, s3, -1
	s_sub_i32 s3, 0, s3
	v_and_b32_e32 v1, s3, v0
	v_lshlrev_b32_e32 v1, 10, v1
	v_min_u32_e32 v2, s8, v1
	v_add_u32_e32 v1, s2, v1
	v_min_u32_e32 v4, s8, v1
	v_add_u32_e32 v1, s2, v4
	v_and_b32_e32 v3, s9, v0
	v_min_u32_e32 v1, s8, v1
	v_sub_u32_e32 v5, v1, v2
	v_lshlrev_b32_e32 v3, 10, v3
	v_min_u32_e32 v10, v5, v3
	v_sub_u32_e32 v3, v4, v2
	v_sub_u32_e32 v1, v1, v4
	v_sub_u32_e64 v1, v10, v1 clamp
	v_min_u32_e32 v11, v10, v3
	v_cmp_lt_u32_e32 vcc, v1, v11
	s_and_saveexec_b64 s[2:3], vcc
	s_cbranch_execz .LBB7_5
; %bb.2:
	s_load_dwordx2 s[0:1], s[0:1], 0x0
	v_mov_b32_e32 v5, 0
	v_mov_b32_e32 v3, v5
	s_waitcnt lgkmcnt(0)
	v_lshl_add_u64 v[6:7], v[2:3], 3, s[0:1]
	v_lshl_add_u64 v[8:9], v[4:5], 3, s[0:1]
	s_mov_b64 s[0:1], 0
.LBB7_3:                                ; =>This Inner Loop Header: Depth=1
	v_add_u32_e32 v3, v11, v1
	v_lshrrev_b32_e32 v4, 1, v3
	v_mov_b32_e32 v13, v5
	v_xad_u32 v12, v4, -1, v10
	v_lshl_add_u64 v[14:15], v[4:5], 3, v[6:7]
	v_lshl_add_u64 v[12:13], v[12:13], 3, v[8:9]
	global_load_dwordx2 v[14:15], v[14:15], off
	v_add_u32_e32 v3, 1, v4
	global_load_dwordx2 v[12:13], v[12:13], off
	s_waitcnt vmcnt(1)
	v_and_b32_e32 v15, s7, v15
	v_and_b32_e32 v14, s6, v14
	s_waitcnt vmcnt(0)
	v_and_b32_e32 v13, s7, v13
	v_and_b32_e32 v12, s6, v12
	v_cmp_gt_u64_e32 vcc, v[12:13], v[14:15]
	s_nop 1
	v_cndmask_b32_e32 v11, v11, v4, vcc
	v_cndmask_b32_e32 v1, v3, v1, vcc
	v_cmp_ge_u32_e32 vcc, v1, v11
	s_or_b64 s[0:1], vcc, s[0:1]
	s_andn2_b64 exec, exec, s[0:1]
	s_cbranch_execnz .LBB7_3
; %bb.4:
	s_or_b64 exec, exec, s[0:1]
.LBB7_5:
	s_or_b64 exec, exec, s[2:3]
	v_mov_b32_e32 v4, s4
	v_mov_b32_e32 v5, s5
	v_add_u32_e32 v2, v1, v2
	v_mov_b32_e32 v1, 0
	v_lshl_add_u64 v[0:1], v[0:1], 2, v[4:5]
	global_store_dword v[0:1], v2, off
.LBB7_6:
	s_endpgm
	.section	.rodata,"a",@progbits
	.p2align	6, 0x0
	.amdhsa_kernel _ZN7rocprim17ROCPRIM_304000_NS6detail45device_block_merge_mergepath_partition_kernelINS1_37wrapped_merge_sort_block_merge_configINS0_14default_configEmN2at4cuda3cub6detail10OpaqueTypeILi8EEEEEPmjNS1_19radix_merge_compareILb1ELb1EmNS0_19identity_decomposerEEEEEvT0_T1_jPSH_T2_SH_
		.amdhsa_group_segment_fixed_size 0
		.amdhsa_private_segment_fixed_size 0
		.amdhsa_kernarg_size 36
		.amdhsa_user_sgpr_count 2
		.amdhsa_user_sgpr_dispatch_ptr 0
		.amdhsa_user_sgpr_queue_ptr 0
		.amdhsa_user_sgpr_kernarg_segment_ptr 1
		.amdhsa_user_sgpr_dispatch_id 0
		.amdhsa_user_sgpr_kernarg_preload_length 0
		.amdhsa_user_sgpr_kernarg_preload_offset 0
		.amdhsa_user_sgpr_private_segment_size 0
		.amdhsa_uses_dynamic_stack 0
		.amdhsa_enable_private_segment 0
		.amdhsa_system_sgpr_workgroup_id_x 1
		.amdhsa_system_sgpr_workgroup_id_y 0
		.amdhsa_system_sgpr_workgroup_id_z 0
		.amdhsa_system_sgpr_workgroup_info 0
		.amdhsa_system_vgpr_workitem_id 0
		.amdhsa_next_free_vgpr 16
		.amdhsa_next_free_sgpr 10
		.amdhsa_accum_offset 16
		.amdhsa_reserve_vcc 1
		.amdhsa_float_round_mode_32 0
		.amdhsa_float_round_mode_16_64 0
		.amdhsa_float_denorm_mode_32 3
		.amdhsa_float_denorm_mode_16_64 3
		.amdhsa_dx10_clamp 1
		.amdhsa_ieee_mode 1
		.amdhsa_fp16_overflow 0
		.amdhsa_tg_split 0
		.amdhsa_exception_fp_ieee_invalid_op 0
		.amdhsa_exception_fp_denorm_src 0
		.amdhsa_exception_fp_ieee_div_zero 0
		.amdhsa_exception_fp_ieee_overflow 0
		.amdhsa_exception_fp_ieee_underflow 0
		.amdhsa_exception_fp_ieee_inexact 0
		.amdhsa_exception_int_div_zero 0
	.end_amdhsa_kernel
	.section	.text._ZN7rocprim17ROCPRIM_304000_NS6detail45device_block_merge_mergepath_partition_kernelINS1_37wrapped_merge_sort_block_merge_configINS0_14default_configEmN2at4cuda3cub6detail10OpaqueTypeILi8EEEEEPmjNS1_19radix_merge_compareILb1ELb1EmNS0_19identity_decomposerEEEEEvT0_T1_jPSH_T2_SH_,"axG",@progbits,_ZN7rocprim17ROCPRIM_304000_NS6detail45device_block_merge_mergepath_partition_kernelINS1_37wrapped_merge_sort_block_merge_configINS0_14default_configEmN2at4cuda3cub6detail10OpaqueTypeILi8EEEEEPmjNS1_19radix_merge_compareILb1ELb1EmNS0_19identity_decomposerEEEEEvT0_T1_jPSH_T2_SH_,comdat
.Lfunc_end7:
	.size	_ZN7rocprim17ROCPRIM_304000_NS6detail45device_block_merge_mergepath_partition_kernelINS1_37wrapped_merge_sort_block_merge_configINS0_14default_configEmN2at4cuda3cub6detail10OpaqueTypeILi8EEEEEPmjNS1_19radix_merge_compareILb1ELb1EmNS0_19identity_decomposerEEEEEvT0_T1_jPSH_T2_SH_, .Lfunc_end7-_ZN7rocprim17ROCPRIM_304000_NS6detail45device_block_merge_mergepath_partition_kernelINS1_37wrapped_merge_sort_block_merge_configINS0_14default_configEmN2at4cuda3cub6detail10OpaqueTypeILi8EEEEEPmjNS1_19radix_merge_compareILb1ELb1EmNS0_19identity_decomposerEEEEEvT0_T1_jPSH_T2_SH_
                                        ; -- End function
	.set _ZN7rocprim17ROCPRIM_304000_NS6detail45device_block_merge_mergepath_partition_kernelINS1_37wrapped_merge_sort_block_merge_configINS0_14default_configEmN2at4cuda3cub6detail10OpaqueTypeILi8EEEEEPmjNS1_19radix_merge_compareILb1ELb1EmNS0_19identity_decomposerEEEEEvT0_T1_jPSH_T2_SH_.num_vgpr, 16
	.set _ZN7rocprim17ROCPRIM_304000_NS6detail45device_block_merge_mergepath_partition_kernelINS1_37wrapped_merge_sort_block_merge_configINS0_14default_configEmN2at4cuda3cub6detail10OpaqueTypeILi8EEEEEPmjNS1_19radix_merge_compareILb1ELb1EmNS0_19identity_decomposerEEEEEvT0_T1_jPSH_T2_SH_.num_agpr, 0
	.set _ZN7rocprim17ROCPRIM_304000_NS6detail45device_block_merge_mergepath_partition_kernelINS1_37wrapped_merge_sort_block_merge_configINS0_14default_configEmN2at4cuda3cub6detail10OpaqueTypeILi8EEEEEPmjNS1_19radix_merge_compareILb1ELb1EmNS0_19identity_decomposerEEEEEvT0_T1_jPSH_T2_SH_.numbered_sgpr, 10
	.set _ZN7rocprim17ROCPRIM_304000_NS6detail45device_block_merge_mergepath_partition_kernelINS1_37wrapped_merge_sort_block_merge_configINS0_14default_configEmN2at4cuda3cub6detail10OpaqueTypeILi8EEEEEPmjNS1_19radix_merge_compareILb1ELb1EmNS0_19identity_decomposerEEEEEvT0_T1_jPSH_T2_SH_.num_named_barrier, 0
	.set _ZN7rocprim17ROCPRIM_304000_NS6detail45device_block_merge_mergepath_partition_kernelINS1_37wrapped_merge_sort_block_merge_configINS0_14default_configEmN2at4cuda3cub6detail10OpaqueTypeILi8EEEEEPmjNS1_19radix_merge_compareILb1ELb1EmNS0_19identity_decomposerEEEEEvT0_T1_jPSH_T2_SH_.private_seg_size, 0
	.set _ZN7rocprim17ROCPRIM_304000_NS6detail45device_block_merge_mergepath_partition_kernelINS1_37wrapped_merge_sort_block_merge_configINS0_14default_configEmN2at4cuda3cub6detail10OpaqueTypeILi8EEEEEPmjNS1_19radix_merge_compareILb1ELb1EmNS0_19identity_decomposerEEEEEvT0_T1_jPSH_T2_SH_.uses_vcc, 1
	.set _ZN7rocprim17ROCPRIM_304000_NS6detail45device_block_merge_mergepath_partition_kernelINS1_37wrapped_merge_sort_block_merge_configINS0_14default_configEmN2at4cuda3cub6detail10OpaqueTypeILi8EEEEEPmjNS1_19radix_merge_compareILb1ELb1EmNS0_19identity_decomposerEEEEEvT0_T1_jPSH_T2_SH_.uses_flat_scratch, 0
	.set _ZN7rocprim17ROCPRIM_304000_NS6detail45device_block_merge_mergepath_partition_kernelINS1_37wrapped_merge_sort_block_merge_configINS0_14default_configEmN2at4cuda3cub6detail10OpaqueTypeILi8EEEEEPmjNS1_19radix_merge_compareILb1ELb1EmNS0_19identity_decomposerEEEEEvT0_T1_jPSH_T2_SH_.has_dyn_sized_stack, 0
	.set _ZN7rocprim17ROCPRIM_304000_NS6detail45device_block_merge_mergepath_partition_kernelINS1_37wrapped_merge_sort_block_merge_configINS0_14default_configEmN2at4cuda3cub6detail10OpaqueTypeILi8EEEEEPmjNS1_19radix_merge_compareILb1ELb1EmNS0_19identity_decomposerEEEEEvT0_T1_jPSH_T2_SH_.has_recursion, 0
	.set _ZN7rocprim17ROCPRIM_304000_NS6detail45device_block_merge_mergepath_partition_kernelINS1_37wrapped_merge_sort_block_merge_configINS0_14default_configEmN2at4cuda3cub6detail10OpaqueTypeILi8EEEEEPmjNS1_19radix_merge_compareILb1ELb1EmNS0_19identity_decomposerEEEEEvT0_T1_jPSH_T2_SH_.has_indirect_call, 0
	.section	.AMDGPU.csdata,"",@progbits
; Kernel info:
; codeLenInByte = 344
; TotalNumSgprs: 16
; NumVgprs: 16
; NumAgprs: 0
; TotalNumVgprs: 16
; ScratchSize: 0
; MemoryBound: 0
; FloatMode: 240
; IeeeMode: 1
; LDSByteSize: 0 bytes/workgroup (compile time only)
; SGPRBlocks: 1
; VGPRBlocks: 1
; NumSGPRsForWavesPerEU: 16
; NumVGPRsForWavesPerEU: 16
; AccumOffset: 16
; Occupancy: 8
; WaveLimiterHint : 0
; COMPUTE_PGM_RSRC2:SCRATCH_EN: 0
; COMPUTE_PGM_RSRC2:USER_SGPR: 2
; COMPUTE_PGM_RSRC2:TRAP_HANDLER: 0
; COMPUTE_PGM_RSRC2:TGID_X_EN: 1
; COMPUTE_PGM_RSRC2:TGID_Y_EN: 0
; COMPUTE_PGM_RSRC2:TGID_Z_EN: 0
; COMPUTE_PGM_RSRC2:TIDIG_COMP_CNT: 0
; COMPUTE_PGM_RSRC3_GFX90A:ACCUM_OFFSET: 3
; COMPUTE_PGM_RSRC3_GFX90A:TG_SPLIT: 0
	.section	.text._ZN7rocprim17ROCPRIM_304000_NS6detail35device_block_merge_mergepath_kernelINS1_37wrapped_merge_sort_block_merge_configINS0_14default_configEmN2at4cuda3cub6detail10OpaqueTypeILi8EEEEEPmSC_PSA_SD_jNS1_19radix_merge_compareILb1ELb1EmNS0_19identity_decomposerEEEEEvT0_T1_T2_T3_T4_SL_jT5_PKSL_NS1_7vsmem_tE,"axG",@progbits,_ZN7rocprim17ROCPRIM_304000_NS6detail35device_block_merge_mergepath_kernelINS1_37wrapped_merge_sort_block_merge_configINS0_14default_configEmN2at4cuda3cub6detail10OpaqueTypeILi8EEEEEPmSC_PSA_SD_jNS1_19radix_merge_compareILb1ELb1EmNS0_19identity_decomposerEEEEEvT0_T1_T2_T3_T4_SL_jT5_PKSL_NS1_7vsmem_tE,comdat
	.protected	_ZN7rocprim17ROCPRIM_304000_NS6detail35device_block_merge_mergepath_kernelINS1_37wrapped_merge_sort_block_merge_configINS0_14default_configEmN2at4cuda3cub6detail10OpaqueTypeILi8EEEEEPmSC_PSA_SD_jNS1_19radix_merge_compareILb1ELb1EmNS0_19identity_decomposerEEEEEvT0_T1_T2_T3_T4_SL_jT5_PKSL_NS1_7vsmem_tE ; -- Begin function _ZN7rocprim17ROCPRIM_304000_NS6detail35device_block_merge_mergepath_kernelINS1_37wrapped_merge_sort_block_merge_configINS0_14default_configEmN2at4cuda3cub6detail10OpaqueTypeILi8EEEEEPmSC_PSA_SD_jNS1_19radix_merge_compareILb1ELb1EmNS0_19identity_decomposerEEEEEvT0_T1_T2_T3_T4_SL_jT5_PKSL_NS1_7vsmem_tE
	.globl	_ZN7rocprim17ROCPRIM_304000_NS6detail35device_block_merge_mergepath_kernelINS1_37wrapped_merge_sort_block_merge_configINS0_14default_configEmN2at4cuda3cub6detail10OpaqueTypeILi8EEEEEPmSC_PSA_SD_jNS1_19radix_merge_compareILb1ELb1EmNS0_19identity_decomposerEEEEEvT0_T1_T2_T3_T4_SL_jT5_PKSL_NS1_7vsmem_tE
	.p2align	8
	.type	_ZN7rocprim17ROCPRIM_304000_NS6detail35device_block_merge_mergepath_kernelINS1_37wrapped_merge_sort_block_merge_configINS0_14default_configEmN2at4cuda3cub6detail10OpaqueTypeILi8EEEEEPmSC_PSA_SD_jNS1_19radix_merge_compareILb1ELb1EmNS0_19identity_decomposerEEEEEvT0_T1_T2_T3_T4_SL_jT5_PKSL_NS1_7vsmem_tE,@function
_ZN7rocprim17ROCPRIM_304000_NS6detail35device_block_merge_mergepath_kernelINS1_37wrapped_merge_sort_block_merge_configINS0_14default_configEmN2at4cuda3cub6detail10OpaqueTypeILi8EEEEEPmSC_PSA_SD_jNS1_19radix_merge_compareILb1ELb1EmNS0_19identity_decomposerEEEEEvT0_T1_T2_T3_T4_SL_jT5_PKSL_NS1_7vsmem_tE: ; @_ZN7rocprim17ROCPRIM_304000_NS6detail35device_block_merge_mergepath_kernelINS1_37wrapped_merge_sort_block_merge_configINS0_14default_configEmN2at4cuda3cub6detail10OpaqueTypeILi8EEEEEPmSC_PSA_SD_jNS1_19radix_merge_compareILb1ELb1EmNS0_19identity_decomposerEEEEEvT0_T1_T2_T3_T4_SL_jT5_PKSL_NS1_7vsmem_tE
; %bb.0:
	s_load_dwordx2 s[36:37], s[0:1], 0x48
	s_load_dwordx4 s[16:19], s[0:1], 0x20
	s_add_u32 s34, s0, 0x48
	s_addc_u32 s35, s1, 0
	s_waitcnt lgkmcnt(0)
	s_mul_i32 s4, s37, s4
	s_add_i32 s3, s4, s3
	s_mul_i32 s3, s3, s36
	s_add_i32 s6, s3, s2
	s_cmp_ge_u32 s6, s18
	s_cbranch_scc1 .LBB8_103
; %bb.1:
	s_load_dwordx8 s[8:15], s[0:1], 0x0
	s_load_dwordx4 s[20:23], s[0:1], 0x30
	s_lshr_b32 s37, s16, 10
	s_cmp_lg_u32 s6, s37
	s_mov_b32 s7, 0
	s_cselect_b64 s[24:25], -1, 0
	s_lshl_b64 s[0:1], s[6:7], 2
	s_waitcnt lgkmcnt(0)
	s_add_u32 s0, s22, s0
	s_addc_u32 s1, s23, s1
	s_load_dwordx2 s[22:23], s[0:1], 0x0
	s_lshr_b32 s0, s17, 9
	s_and_b32 s0, s0, 0x7ffffe
	s_sub_i32 s0, 0, s0
	s_and_b32 s1, s6, s0
	s_lshl_b32 s3, s1, 10
	s_lshl_b32 s18, s6, 10
	;; [unrolled: 1-line block ×3, first 2 shown]
	s_sub_i32 s4, s18, s3
	s_add_i32 s1, s1, s17
	s_add_i32 s4, s1, s4
	s_waitcnt lgkmcnt(0)
	s_sub_i32 s5, s4, s22
	s_sub_i32 s4, s4, s23
	;; [unrolled: 1-line block ×3, first 2 shown]
	s_min_u32 s26, s16, s5
	s_addk_i32 s4, 0x400
	s_or_b32 s0, s6, s0
	s_min_u32 s3, s16, s1
	s_add_i32 s1, s1, s17
	s_cmp_eq_u32 s0, -1
	s_cselect_b32 s0, s1, s4
	s_cselect_b32 s1, s3, s23
	s_min_u32 s0, s0, s16
	s_mov_b32 s23, s7
	s_sub_i32 s19, s1, s22
	s_sub_i32 s33, s0, s26
	s_lshl_b64 s[28:29], s[22:23], 3
	s_add_u32 s0, s8, s28
	s_mov_b32 s27, s7
	s_addc_u32 s1, s9, s29
	s_lshl_b64 s[30:31], s[26:27], 3
	s_add_u32 s4, s8, s30
	s_addc_u32 s5, s9, s31
	s_cmp_lt_u32 s2, s36
	v_mov_b32_e32 v19, 0
	s_cselect_b32 s2, 12, 18
	global_load_dword v1, v19, s[34:35] offset:14
	s_add_u32 s2, s34, s2
	s_addc_u32 s3, s35, 0
	global_load_ushort v2, v19, s[2:3]
	v_cmp_gt_u32_e32 vcc, s19, v0
	s_cmp_eq_u32 s6, s37
	v_lshlrev_b32_e32 v18, 3, v0
	s_waitcnt vmcnt(1)
	v_lshrrev_b32_e32 v3, 16, v1
	v_and_b32_e32 v1, 0xffff, v1
	v_mul_lo_u32 v1, v1, v3
	s_waitcnt vmcnt(0)
	v_mul_lo_u32 v1, v1, v2
	v_add_u32_e32 v20, v1, v0
	s_cbranch_scc1 .LBB8_3
; %bb.2:
	v_subrev_u32_e32 v4, s19, v0
	v_lshlrev_b32_e32 v4, 3, v4
	v_mov_b32_e32 v5, v19
	v_lshl_add_u64 v[2:3], s[0:1], 0, v[18:19]
	v_lshl_add_u64 v[4:5], s[4:5], 0, v[4:5]
	v_cndmask_b32_e32 v3, v5, v3, vcc
	v_cndmask_b32_e32 v2, v4, v2, vcc
	v_mov_b32_e32 v21, v19
	v_subrev_co_u32_e32 v6, vcc, s19, v20
	v_mov_b32_e32 v7, v19
	v_lshl_add_u64 v[4:5], v[20:21], 3, s[0:1]
	v_lshl_add_u64 v[6:7], v[6:7], 3, s[4:5]
	v_add_u32_e32 v8, v20, v1
	v_cndmask_b32_e32 v5, v7, v5, vcc
	v_cndmask_b32_e32 v4, v6, v4, vcc
	v_mov_b32_e32 v9, v19
	v_subrev_co_u32_e32 v10, vcc, s19, v8
	v_mov_b32_e32 v11, v19
	v_lshl_add_u64 v[6:7], v[8:9], 3, s[0:1]
	v_lshl_add_u64 v[10:11], v[10:11], 3, s[4:5]
	v_cndmask_b32_e32 v6, v10, v6, vcc
	v_add_u32_e32 v10, v8, v1
	v_cndmask_b32_e32 v7, v11, v7, vcc
	v_mov_b32_e32 v11, v19
	v_subrev_co_u32_e32 v12, vcc, s19, v10
	v_mov_b32_e32 v13, v19
	v_lshl_add_u64 v[8:9], v[10:11], 3, s[0:1]
	v_lshl_add_u64 v[12:13], v[12:13], 3, s[4:5]
	v_cndmask_b32_e32 v8, v12, v8, vcc
	v_add_u32_e32 v12, v10, v1
	;; [unrolled: 8-line block ×4, first 2 shown]
	v_cndmask_b32_e32 v13, v17, v13, vcc
	v_mov_b32_e32 v17, v19
	v_subrev_co_u32_e32 v22, vcc, s19, v16
	v_mov_b32_e32 v23, v19
	v_lshl_add_u64 v[14:15], v[16:17], 3, s[0:1]
	v_lshl_add_u64 v[22:23], v[22:23], 3, s[4:5]
	v_add_u32_e32 v16, v16, v1
	v_cndmask_b32_e32 v15, v23, v15, vcc
	v_cndmask_b32_e32 v14, v22, v14, vcc
	v_lshl_add_u64 v[22:23], v[16:17], 3, s[0:1]
	v_subrev_co_u32_e32 v16, vcc, s19, v16
	v_lshl_add_u64 v[16:17], v[16:17], 3, s[4:5]
	s_nop 0
	v_cndmask_b32_e32 v17, v17, v23, vcc
	v_cndmask_b32_e32 v16, v16, v22, vcc
	global_load_dwordx2 v[2:3], v[2:3], off
	s_add_i32 s17, s33, s19
	global_load_dwordx2 v[4:5], v[4:5], off
	s_nop 0
	global_load_dwordx2 v[6:7], v[6:7], off
	s_nop 0
	;; [unrolled: 2-line block ×6, first 2 shown]
	global_load_dwordx2 v[16:17], v[16:17], off
	s_cbranch_execz .LBB8_4
	s_branch .LBB8_21
.LBB8_3:
                                        ; implicit-def: $vgpr2_vgpr3_vgpr4_vgpr5_vgpr6_vgpr7_vgpr8_vgpr9_vgpr10_vgpr11_vgpr12_vgpr13_vgpr14_vgpr15_vgpr16_vgpr17
                                        ; implicit-def: $sgpr17
.LBB8_4:
	s_add_i32 s17, s33, s19
	s_waitcnt vmcnt(7)
	v_mov_b32_e32 v2, 0
	v_cmp_gt_u32_e32 vcc, s17, v0
	v_mov_b32_e32 v3, v2
	s_waitcnt vmcnt(6)
	v_mov_b32_e32 v4, v2
	v_mov_b32_e32 v5, v2
	s_waitcnt vmcnt(5)
	v_mov_b32_e32 v6, v2
	;; [unrolled: 3-line block ×7, first 2 shown]
	v_mov_b32_e32 v17, v2
	s_and_saveexec_b64 s[2:3], vcc
	s_cbranch_execz .LBB8_6
; %bb.5:
	v_subrev_u32_e32 v3, s19, v0
	v_mov_b32_e32 v19, v2
	v_lshlrev_b32_e32 v6, 3, v3
	v_mov_b32_e32 v7, v2
	v_lshl_add_u64 v[4:5], s[0:1], 0, v[18:19]
	v_lshl_add_u64 v[6:7], s[4:5], 0, v[6:7]
	v_cmp_gt_u32_e32 vcc, s19, v0
	v_mov_b32_e32 v24, v2
	v_mov_b32_e32 v25, v2
	v_cndmask_b32_e32 v5, v7, v5, vcc
	v_cndmask_b32_e32 v4, v6, v4, vcc
	global_load_dwordx2 v[22:23], v[4:5], off
	v_mov_b32_e32 v26, v2
	v_mov_b32_e32 v27, v2
	;; [unrolled: 1-line block ×12, first 2 shown]
	s_waitcnt vmcnt(0)
	v_mov_b64_e32 v[2:3], v[22:23]
	v_mov_b64_e32 v[4:5], v[24:25]
	;; [unrolled: 1-line block ×8, first 2 shown]
.LBB8_6:
	s_or_b64 exec, exec, s[2:3]
	v_cmp_gt_u32_e32 vcc, s17, v20
	s_and_saveexec_b64 s[2:3], vcc
	s_cbranch_execz .LBB8_8
; %bb.7:
	v_mov_b32_e32 v21, 0
	v_subrev_co_u32_e32 v22, vcc, s19, v20
	v_mov_b32_e32 v23, v21
	v_lshl_add_u64 v[4:5], v[20:21], 3, s[0:1]
	v_lshl_add_u64 v[22:23], v[22:23], 3, s[4:5]
	v_cndmask_b32_e32 v5, v23, v5, vcc
	v_cndmask_b32_e32 v4, v22, v4, vcc
	global_load_dwordx2 v[4:5], v[4:5], off
.LBB8_8:
	s_or_b64 exec, exec, s[2:3]
	v_add_u32_e32 v20, v20, v1
	v_cmp_gt_u32_e32 vcc, s17, v20
	s_and_saveexec_b64 s[2:3], vcc
	s_cbranch_execz .LBB8_10
; %bb.9:
	v_mov_b32_e32 v21, 0
	v_subrev_co_u32_e32 v22, vcc, s19, v20
	v_mov_b32_e32 v23, v21
	v_lshl_add_u64 v[6:7], v[20:21], 3, s[0:1]
	v_lshl_add_u64 v[22:23], v[22:23], 3, s[4:5]
	v_cndmask_b32_e32 v7, v23, v7, vcc
	v_cndmask_b32_e32 v6, v22, v6, vcc
	global_load_dwordx2 v[6:7], v[6:7], off
.LBB8_10:
	s_or_b64 exec, exec, s[2:3]
	v_add_u32_e32 v20, v20, v1
	;; [unrolled: 15-line block ×6, first 2 shown]
	v_cmp_gt_u32_e32 vcc, s17, v20
	s_and_saveexec_b64 s[2:3], vcc
	s_cbranch_execz .LBB8_20
; %bb.19:
	v_mov_b32_e32 v21, 0
	v_lshl_add_u64 v[16:17], v[20:21], 3, s[0:1]
	v_subrev_co_u32_e32 v20, vcc, s19, v20
	v_lshl_add_u64 v[20:21], v[20:21], 3, s[4:5]
	s_nop 0
	v_cndmask_b32_e32 v17, v21, v17, vcc
	v_cndmask_b32_e32 v16, v20, v16, vcc
	global_load_dwordx2 v[16:17], v[16:17], off
.LBB8_20:
	s_or_b64 exec, exec, s[2:3]
.LBB8_21:
	v_min_u32_e32 v1, s17, v18
	v_sub_u32_e64 v19, v1, s33 clamp
	v_min_u32_e32 v20, s19, v1
	v_cmp_lt_u32_e32 vcc, v19, v20
	s_waitcnt vmcnt(0)
	ds_write2st64_b64 v18, v[2:3], v[4:5] offset1:2
	ds_write2st64_b64 v18, v[6:7], v[8:9] offset0:4 offset1:6
	ds_write2st64_b64 v18, v[10:11], v[12:13] offset0:8 offset1:10
	;; [unrolled: 1-line block ×3, first 2 shown]
	s_waitcnt lgkmcnt(0)
	s_barrier
	s_and_saveexec_b64 s[0:1], vcc
	s_cbranch_execz .LBB8_25
; %bb.22:
	v_lshlrev_b32_e32 v21, 3, v1
	v_lshl_add_u32 v21, s19, 3, v21
	s_mov_b64 s[2:3], 0
.LBB8_23:                               ; =>This Inner Loop Header: Depth=1
	v_add_u32_e32 v22, v20, v19
	v_lshrrev_b32_e32 v26, 1, v22
	v_not_b32_e32 v24, v26
	v_lshlrev_b32_e32 v22, 3, v26
	v_lshl_add_u32 v24, v24, 3, v21
	ds_read_b64 v[22:23], v22
	ds_read_b64 v[24:25], v24
	v_add_u32_e32 v27, 1, v26
	s_waitcnt lgkmcnt(1)
	v_and_b32_e32 v23, s21, v23
	v_and_b32_e32 v22, s20, v22
	s_waitcnt lgkmcnt(0)
	v_and_b32_e32 v25, s21, v25
	v_and_b32_e32 v24, s20, v24
	v_cmp_gt_u64_e32 vcc, v[24:25], v[22:23]
	s_nop 1
	v_cndmask_b32_e32 v20, v20, v26, vcc
	v_cndmask_b32_e32 v19, v27, v19, vcc
	v_cmp_ge_u32_e32 vcc, v19, v20
	s_or_b64 s[2:3], vcc, s[2:3]
	s_andn2_b64 exec, exec, s[2:3]
	s_cbranch_execnz .LBB8_23
; %bb.24:
	s_or_b64 exec, exec, s[2:3]
.LBB8_25:
	s_or_b64 exec, exec, s[0:1]
	v_sub_u32_e32 v1, v1, v19
	v_add_u32_e32 v20, s19, v1
	v_cmp_ge_u32_e32 vcc, s19, v19
	v_cmp_ge_u32_e64 s[0:1], s17, v20
	s_or_b64 s[0:1], vcc, s[0:1]
	v_mov_b32_e32 v28, 0
	v_mov_b32_e32 v30, 0
	;; [unrolled: 1-line block ×8, first 2 shown]
	s_and_saveexec_b64 s[34:35], s[0:1]
	s_cbranch_execz .LBB8_31
; %bb.26:
	v_cmp_gt_u32_e32 vcc, s19, v19
                                        ; implicit-def: $vgpr2_vgpr3
	s_and_saveexec_b64 s[0:1], vcc
; %bb.27:
	v_lshlrev_b32_e32 v1, 3, v19
	ds_read_b64 v[2:3], v1
; %bb.28:
	s_or_b64 exec, exec, s[0:1]
	v_cmp_le_u32_e64 s[0:1], s17, v20
	v_cmp_gt_u32_e64 s[2:3], s17, v20
                                        ; implicit-def: $vgpr4_vgpr5
	s_and_saveexec_b64 s[4:5], s[2:3]
; %bb.29:
	v_lshlrev_b32_e32 v1, 3, v20
	ds_read_b64 v[4:5], v1
; %bb.30:
	s_or_b64 exec, exec, s[4:5]
	s_waitcnt lgkmcnt(0)
	v_and_b32_e32 v7, s21, v5
	v_and_b32_e32 v6, s20, v4
	;; [unrolled: 1-line block ×4, first 2 shown]
	v_cmp_le_u64_e64 s[2:3], v[6:7], v[8:9]
	s_and_b64 s[2:3], vcc, s[2:3]
	s_or_b64 vcc, s[0:1], s[2:3]
	v_mov_b32_e32 v16, s17
	v_mov_b32_e32 v17, s19
	v_cndmask_b32_e32 v1, v20, v19, vcc
	v_cndmask_b32_e32 v6, v16, v17, vcc
	v_add_u32_e32 v8, 1, v1
	v_add_u32_e32 v6, -1, v6
	v_min_u32_e32 v6, v8, v6
	v_lshlrev_b32_e32 v6, 3, v6
	ds_read_b64 v[6:7], v6
	v_cndmask_b32_e32 v14, v8, v20, vcc
	v_cndmask_b32_e32 v15, v19, v8, vcc
	v_cmp_gt_u32_e64 s[2:3], s19, v15
	v_cmp_le_u32_e64 s[0:1], s17, v14
	s_waitcnt lgkmcnt(0)
	v_cndmask_b32_e32 v10, v7, v5, vcc
	v_cndmask_b32_e32 v11, v6, v4, vcc
	;; [unrolled: 1-line block ×4, first 2 shown]
	v_and_b32_e32 v7, s21, v10
	v_and_b32_e32 v6, s20, v11
	;; [unrolled: 1-line block ×4, first 2 shown]
	v_cmp_le_u64_e64 s[4:5], v[6:7], v[8:9]
	s_and_b64 s[2:3], s[2:3], s[4:5]
	s_or_b64 s[0:1], s[0:1], s[2:3]
	v_cndmask_b32_e64 v24, v14, v15, s[0:1]
	v_cndmask_b32_e64 v6, v16, v17, s[0:1]
	v_add_u32_e32 v8, 1, v24
	v_add_u32_e32 v6, -1, v6
	v_min_u32_e32 v6, v8, v6
	v_lshlrev_b32_e32 v6, 3, v6
	ds_read_b64 v[6:7], v6
	v_cndmask_b32_e64 v14, v8, v14, s[0:1]
	v_cndmask_b32_e64 v15, v15, v8, s[0:1]
	v_cmp_gt_u32_e64 s[4:5], s19, v15
	v_cmp_le_u32_e64 s[2:3], s17, v14
	s_waitcnt lgkmcnt(0)
	v_cndmask_b32_e64 v19, v7, v10, s[0:1]
	v_cndmask_b32_e64 v20, v6, v11, s[0:1]
	;; [unrolled: 1-line block ×4, first 2 shown]
	v_and_b32_e32 v7, s21, v19
	v_and_b32_e32 v6, s20, v20
	;; [unrolled: 1-line block ×4, first 2 shown]
	v_cmp_le_u64_e64 s[6:7], v[6:7], v[8:9]
	s_and_b64 s[4:5], s[4:5], s[6:7]
	s_or_b64 s[2:3], s[2:3], s[4:5]
	v_cndmask_b32_e64 v25, v14, v15, s[2:3]
	v_cndmask_b32_e64 v6, v16, v17, s[2:3]
	v_add_u32_e32 v8, 1, v25
	v_add_u32_e32 v6, -1, v6
	v_min_u32_e32 v6, v8, v6
	v_lshlrev_b32_e32 v6, 3, v6
	ds_read_b64 v[6:7], v6
	v_cndmask_b32_e64 v14, v8, v14, s[2:3]
	v_cndmask_b32_e64 v15, v15, v8, s[2:3]
	v_cmp_gt_u32_e64 s[6:7], s19, v15
	v_cmp_le_u32_e64 s[4:5], s17, v14
	s_waitcnt lgkmcnt(0)
	v_cndmask_b32_e64 v23, v7, v19, s[2:3]
	v_cndmask_b32_e64 v28, v6, v20, s[2:3]
	;; [unrolled: 1-line block ×4, first 2 shown]
	v_and_b32_e32 v7, s21, v23
	v_and_b32_e32 v6, s20, v28
	;; [unrolled: 1-line block ×4, first 2 shown]
	v_cmp_le_u64_e64 s[8:9], v[6:7], v[8:9]
	s_and_b64 s[6:7], s[6:7], s[8:9]
	s_or_b64 s[4:5], s[4:5], s[6:7]
	v_cndmask_b32_e64 v26, v14, v15, s[4:5]
	v_cndmask_b32_e64 v6, v16, v17, s[4:5]
	v_add_u32_e32 v8, 1, v26
	v_add_u32_e32 v6, -1, v6
	v_min_u32_e32 v6, v8, v6
	v_lshlrev_b32_e32 v6, 3, v6
	ds_read_b64 v[6:7], v6
	v_cndmask_b32_e32 v3, v5, v3, vcc
	v_cndmask_b32_e32 v2, v4, v2, vcc
	v_cndmask_b32_e64 v15, v15, v8, s[4:5]
	v_cndmask_b32_e64 v14, v8, v14, s[4:5]
	s_waitcnt lgkmcnt(0)
	v_cndmask_b32_e64 v32, v7, v23, s[4:5]
	v_cndmask_b32_e64 v33, v6, v28, s[4:5]
	;; [unrolled: 1-line block ×4, first 2 shown]
	v_and_b32_e32 v5, s21, v32
	v_and_b32_e32 v4, s20, v33
	;; [unrolled: 1-line block ×4, first 2 shown]
	v_cmp_gt_u32_e64 s[6:7], s19, v15
	v_cmp_le_u64_e64 s[8:9], v[4:5], v[6:7]
	v_cmp_le_u32_e32 vcc, s17, v14
	s_and_b64 s[6:7], s[6:7], s[8:9]
	s_or_b64 vcc, vcc, s[6:7]
	v_cndmask_b32_e32 v27, v14, v15, vcc
	v_cndmask_b32_e32 v4, v16, v17, vcc
	v_add_u32_e32 v29, 1, v27
	v_add_u32_e32 v4, -1, v4
	v_min_u32_e32 v4, v29, v4
	v_lshlrev_b32_e32 v4, 3, v4
	ds_read_b64 v[8:9], v4
	v_cndmask_b32_e64 v7, v19, v21, s[2:3]
	v_cndmask_b32_e64 v6, v20, v22, s[2:3]
	;; [unrolled: 1-line block ×4, first 2 shown]
	s_waitcnt lgkmcnt(0)
	v_cndmask_b32_e32 v19, v9, v32, vcc
	v_cndmask_b32_e32 v20, v8, v33, vcc
	;; [unrolled: 1-line block ×5, first 2 shown]
	v_and_b32_e32 v9, s21, v19
	v_and_b32_e32 v8, s20, v20
	v_and_b32_e32 v11, s21, v21
	v_and_b32_e32 v10, s20, v22
	v_cndmask_b32_e32 v14, v29, v14, vcc
	v_cmp_gt_u32_e64 s[2:3], s19, v15
	v_cmp_le_u64_e64 s[6:7], v[8:9], v[10:11]
	v_cmp_le_u32_e64 s[0:1], s17, v14
	s_and_b64 s[2:3], s[2:3], s[6:7]
	s_or_b64 s[0:1], s[0:1], s[2:3]
	v_cndmask_b32_e64 v29, v14, v15, s[0:1]
	v_cndmask_b32_e64 v8, v16, v17, s[0:1]
	v_add_u32_e32 v36, 1, v29
	v_add_u32_e32 v8, -1, v8
	v_min_u32_e32 v8, v36, v8
	v_lshlrev_b32_e32 v8, 3, v8
	ds_read_b64 v[12:13], v8
	v_cndmask_b32_e64 v9, v23, v30, s[4:5]
	v_cndmask_b32_e64 v8, v28, v31, s[4:5]
	v_cndmask_b32_e32 v11, v32, v34, vcc
	v_cndmask_b32_e32 v10, v33, v35, vcc
	s_waitcnt lgkmcnt(0)
	v_cndmask_b32_e64 v23, v13, v19, s[0:1]
	v_cndmask_b32_e64 v28, v12, v20, s[0:1]
	;; [unrolled: 1-line block ×6, first 2 shown]
	v_and_b32_e32 v13, s21, v23
	v_and_b32_e32 v12, s20, v28
	;; [unrolled: 1-line block ×4, first 2 shown]
	v_cmp_gt_u32_e64 s[2:3], s19, v34
	v_cmp_le_u64_e64 s[4:5], v[12:13], v[14:15]
	v_cmp_le_u32_e32 vcc, s17, v33
	s_and_b64 s[2:3], s[2:3], s[4:5]
	s_or_b64 vcc, vcc, s[2:3]
	v_cndmask_b32_e32 v30, v33, v34, vcc
	v_cndmask_b32_e32 v12, v16, v17, vcc
	v_add_u32_e32 v35, 1, v30
	v_add_u32_e32 v12, -1, v12
	v_min_u32_e32 v12, v35, v12
	v_lshlrev_b32_e32 v12, 3, v12
	ds_read_b64 v[16:17], v12
	v_cndmask_b32_e64 v13, v19, v21, s[0:1]
	v_cndmask_b32_e64 v12, v20, v22, s[0:1]
	v_cndmask_b32_e32 v15, v23, v31, vcc
	v_cndmask_b32_e32 v14, v28, v32, vcc
	s_waitcnt lgkmcnt(0)
	v_cndmask_b32_e32 v19, v17, v23, vcc
	v_cndmask_b32_e32 v22, v16, v28, vcc
	;; [unrolled: 1-line block ×5, first 2 shown]
	v_and_b32_e32 v17, s21, v19
	v_and_b32_e32 v16, s20, v22
	;; [unrolled: 1-line block ×4, first 2 shown]
	v_cndmask_b32_e32 v28, v35, v33, vcc
	v_cmp_gt_u32_e64 s[0:1], s19, v32
	v_cmp_le_u64_e64 s[2:3], v[16:17], v[20:21]
	v_cmp_le_u32_e32 vcc, s17, v28
	s_and_b64 s[0:1], s[0:1], s[2:3]
	s_or_b64 vcc, vcc, s[0:1]
	v_cndmask_b32_e32 v28, v28, v32, vcc
	v_cndmask_b32_e32 v17, v19, v23, vcc
	;; [unrolled: 1-line block ×3, first 2 shown]
.LBB8_31:
	s_or_b64 exec, exec, s[34:35]
	s_add_u32 s8, s12, s28
	s_addc_u32 s9, s13, s29
	s_add_u32 s6, s12, s30
	v_cndmask_b32_e64 v19, 0, 1, s[24:25]
	v_mov_b32_e32 v21, 0
	s_addc_u32 s7, s13, s31
	v_cmp_gt_u32_e64 s[4:5], s19, v0
	v_cmp_ne_u32_e64 s[0:1], 1, v19
	s_andn2_b64 vcc, exec, s[24:25]
	v_cmp_le_u32_e64 s[2:3], s19, v0
	s_barrier
	s_cbranch_vccnz .LBB8_33
; %bb.32:
	v_subrev_u32_e32 v19, s19, v0
	v_lshlrev_b32_e32 v20, 3, v19
	v_mov_b32_e32 v19, v21
	v_lshl_add_u64 v[32:33], s[8:9], 0, v[18:19]
	v_or_b32_e32 v19, 0x80, v0
	v_lshl_add_u64 v[22:23], s[6:7], 0, v[20:21]
	v_subrev_u32_e32 v20, s19, v19
	v_cndmask_b32_e64 v23, v23, v33, s[4:5]
	v_cndmask_b32_e64 v22, v22, v32, s[4:5]
	v_min_u32_e32 v20, v19, v20
	v_mov_b32_e32 v31, s7
	v_mov_b32_e32 v46, s9
	v_cmp_gt_u32_e32 vcc, s19, v19
	v_mov_b32_e32 v47, s6
	v_mov_b32_e32 v48, s8
	global_load_dwordx2 v[32:33], v[22:23], off
	v_cndmask_b32_e32 v23, v31, v46, vcc
	v_cndmask_b32_e32 v22, v47, v48, vcc
	v_lshlrev_b32_e32 v20, 3, v20
	v_or_b32_e32 v19, 0x100, v0
	v_lshl_add_u64 v[22:23], v[22:23], 0, v[20:21]
	v_subrev_u32_e32 v20, s19, v19
	v_min_u32_e32 v20, v19, v20
	v_cmp_gt_u32_e32 vcc, s19, v19
	global_load_dwordx2 v[34:35], v[22:23], off
	v_lshlrev_b32_e32 v20, 3, v20
	v_cndmask_b32_e32 v23, v31, v46, vcc
	v_cndmask_b32_e32 v22, v47, v48, vcc
	v_or_b32_e32 v19, 0x180, v0
	v_lshl_add_u64 v[22:23], v[22:23], 0, v[20:21]
	v_subrev_u32_e32 v20, s19, v19
	v_min_u32_e32 v20, v19, v20
	v_cmp_gt_u32_e32 vcc, s19, v19
	global_load_dwordx2 v[36:37], v[22:23], off
	v_lshlrev_b32_e32 v20, 3, v20
	v_cndmask_b32_e32 v23, v31, v46, vcc
	v_cndmask_b32_e32 v22, v47, v48, vcc
	v_or_b32_e32 v19, 0x200, v0
	v_lshl_add_u64 v[22:23], v[22:23], 0, v[20:21]
	v_subrev_u32_e32 v20, s19, v19
	v_min_u32_e32 v20, v19, v20
	v_cmp_gt_u32_e32 vcc, s19, v19
	global_load_dwordx2 v[38:39], v[22:23], off
	v_lshlrev_b32_e32 v20, 3, v20
	v_cndmask_b32_e32 v23, v31, v46, vcc
	v_cndmask_b32_e32 v22, v47, v48, vcc
	v_or_b32_e32 v19, 0x280, v0
	v_lshl_add_u64 v[22:23], v[22:23], 0, v[20:21]
	v_subrev_u32_e32 v20, s19, v19
	v_min_u32_e32 v20, v19, v20
	v_cmp_gt_u32_e32 vcc, s19, v19
	global_load_dwordx2 v[40:41], v[22:23], off
	v_lshlrev_b32_e32 v20, 3, v20
	v_cndmask_b32_e32 v23, v31, v46, vcc
	v_cndmask_b32_e32 v22, v47, v48, vcc
	v_or_b32_e32 v19, 0x300, v0
	v_lshl_add_u64 v[22:23], v[22:23], 0, v[20:21]
	v_subrev_u32_e32 v20, s19, v19
	v_min_u32_e32 v20, v19, v20
	v_cmp_gt_u32_e32 vcc, s19, v19
	global_load_dwordx2 v[42:43], v[22:23], off
	v_lshlrev_b32_e32 v20, 3, v20
	v_cndmask_b32_e32 v23, v31, v46, vcc
	v_cndmask_b32_e32 v22, v47, v48, vcc
	v_lshl_add_u64 v[20:21], v[22:23], 0, v[20:21]
	global_load_dwordx2 v[44:45], v[20:21], off
	v_or_b32_e32 v19, 0x380, v0
	v_subrev_u32_e32 v20, s19, v19
	v_cmp_gt_u32_e32 vcc, s19, v19
	v_min_u32_e32 v22, v19, v20
	s_nop 0
	v_cndmask_b32_e32 v21, v31, v46, vcc
	v_cndmask_b32_e32 v20, v47, v48, vcc
	s_mov_b64 s[4:5], -1
	s_waitcnt vmcnt(5)
	ds_write2st64_b64 v18, v[32:33], v[34:35] offset1:2
	s_waitcnt vmcnt(3)
	ds_write2st64_b64 v18, v[36:37], v[38:39] offset0:4 offset1:6
	s_waitcnt vmcnt(1)
	ds_write2st64_b64 v18, v[40:41], v[42:43] offset0:8 offset1:10
	s_waitcnt vmcnt(0)
	ds_write_b64 v18, v[44:45] offset:6144
	s_cbranch_execz .LBB8_34
	s_branch .LBB8_65
.LBB8_33:
	s_mov_b64 s[4:5], 0
                                        ; implicit-def: $vgpr19
                                        ; implicit-def: $vgpr20_vgpr21
                                        ; implicit-def: $vgpr22
.LBB8_34:
	s_mov_b64 s[4:5], 0
                                        ; implicit-def: $vgpr20_vgpr21
	s_and_saveexec_b64 s[20:21], s[2:3]
	s_xor_b64 s[2:3], exec, s[20:21]
	s_cbranch_execnz .LBB8_104
; %bb.35:
	s_andn2_saveexec_b64 s[2:3], s[2:3]
	s_cbranch_execnz .LBB8_107
.LBB8_36:
	s_or_b64 exec, exec, s[2:3]
	s_and_saveexec_b64 s[2:3], s[4:5]
	s_cbranch_execz .LBB8_38
.LBB8_37:
	global_load_dwordx2 v[20:21], v[20:21], off
	s_waitcnt vmcnt(0)
	ds_write_b64 v18, v[20:21]
.LBB8_38:
	s_or_b64 exec, exec, s[2:3]
	v_or_b32_e32 v19, 0x80, v0
	v_cmp_le_u32_e32 vcc, s19, v19
	s_mov_b64 s[2:3], -1
	v_mov_b64_e32 v[20:21], s[22:23]
	s_and_saveexec_b64 s[4:5], vcc
; %bb.39:
	v_subrev_u32_e32 v19, s19, v19
	v_cmp_gt_u32_e32 vcc, s33, v19
	v_mov_b64_e32 v[20:21], s[26:27]
	s_orn2_b64 s[2:3], vcc, exec
; %bb.40:
	s_or_b64 exec, exec, s[4:5]
	s_and_saveexec_b64 s[4:5], s[2:3]
	s_cbranch_execz .LBB8_42
; %bb.41:
	v_lshl_add_u64 v[20:21], v[20:21], 3, s[12:13]
	v_lshlrev_b32_e32 v22, 3, v19
	v_mov_b32_e32 v23, 0
	v_lshl_add_u64 v[20:21], v[20:21], 0, v[22:23]
	global_load_dwordx2 v[20:21], v[20:21], off
	s_waitcnt vmcnt(0)
	ds_write_b64 v18, v[20:21] offset:1024
.LBB8_42:
	s_or_b64 exec, exec, s[4:5]
	v_or_b32_e32 v19, 0x100, v0
	v_cmp_le_u32_e32 vcc, s19, v19
	s_mov_b64 s[2:3], -1
	v_mov_b64_e32 v[20:21], s[22:23]
	s_and_saveexec_b64 s[4:5], vcc
; %bb.43:
	v_subrev_u32_e32 v19, s19, v19
	v_cmp_gt_u32_e32 vcc, s33, v19
	v_mov_b64_e32 v[20:21], s[26:27]
	s_orn2_b64 s[2:3], vcc, exec
; %bb.44:
	s_or_b64 exec, exec, s[4:5]
	s_and_saveexec_b64 s[4:5], s[2:3]
	s_cbranch_execz .LBB8_46
; %bb.45:
	v_lshl_add_u64 v[20:21], v[20:21], 3, s[12:13]
	v_lshlrev_b32_e32 v22, 3, v19
	v_mov_b32_e32 v23, 0
	v_lshl_add_u64 v[20:21], v[20:21], 0, v[22:23]
	global_load_dwordx2 v[20:21], v[20:21], off
	s_waitcnt vmcnt(0)
	ds_write_b64 v18, v[20:21] offset:2048
.LBB8_46:
	;; [unrolled: 24-line block ×6, first 2 shown]
	s_or_b64 exec, exec, s[4:5]
	v_or_b32_e32 v19, 0x380, v0
	v_cmp_le_u32_e32 vcc, s19, v19
	s_mov_b64 s[4:5], -1
	v_mov_b64_e32 v[20:21], s[8:9]
	v_mov_b32_e32 v22, v19
	s_and_saveexec_b64 s[2:3], vcc
; %bb.63:
	v_subrev_u32_e32 v22, s19, v19
	v_cmp_gt_u32_e32 vcc, s33, v22
	v_mov_b64_e32 v[20:21], s[6:7]
	s_orn2_b64 s[4:5], vcc, exec
; %bb.64:
	s_or_b64 exec, exec, s[2:3]
.LBB8_65:
	s_and_saveexec_b64 s[2:3], s[4:5]
	s_cbranch_execz .LBB8_67
; %bb.66:
	v_mov_b32_e32 v23, 0
	v_lshl_add_u64 v[20:21], v[22:23], 3, v[20:21]
	global_load_dwordx2 v[20:21], v[20:21], off
	v_lshlrev_b32_e32 v19, 3, v19
	s_waitcnt vmcnt(0)
	ds_write_b64 v19, v[20:21]
.LBB8_67:
	s_or_b64 exec, exec, s[2:3]
	s_and_b64 vcc, exec, s[0:1]
	v_add_u32_e32 v20, s18, v18
	s_waitcnt lgkmcnt(0)
	s_barrier
	s_cbranch_vccnz .LBB8_69
; %bb.68:
	v_lshlrev_b32_e32 v19, 3, v1
	v_lshlrev_b32_e32 v22, 3, v24
	;; [unrolled: 1-line block ×4, first 2 shown]
	ds_read_b64 v[34:35], v19
	ds_read_b64 v[36:37], v22
	;; [unrolled: 1-line block ×4, first 2 shown]
	v_lshlrev_b32_e32 v19, 3, v27
	v_lshlrev_b32_e32 v22, 3, v29
	;; [unrolled: 1-line block ×3, first 2 shown]
	ds_read_b64 v[42:43], v19
	ds_read_b64 v[44:45], v22
	;; [unrolled: 1-line block ×3, first 2 shown]
	v_mov_b32_e32 v21, 0
	v_lshl_add_u64 v[32:33], v[20:21], 3, s[14:15]
	s_mov_b64 s[0:1], -1
	s_waitcnt lgkmcnt(5)
	global_store_dwordx4 v[32:33], v[34:37], off
	s_waitcnt lgkmcnt(3)
	global_store_dwordx4 v[32:33], v[38:41], off offset:16
	s_waitcnt lgkmcnt(1)
	global_store_dwordx4 v[32:33], v[42:45], off offset:32
	s_waitcnt lgkmcnt(0)
	global_store_dwordx2 v[32:33], v[22:23], off offset:48
	s_cbranch_execz .LBB8_70
	s_branch .LBB8_87
.LBB8_69:
	s_mov_b64 s[0:1], 0
.LBB8_70:
	v_cmp_gt_u32_e32 vcc, s17, v18
	s_and_saveexec_b64 s[2:3], vcc
	s_cbranch_execz .LBB8_72
; %bb.71:
	v_lshlrev_b32_e32 v1, 3, v1
	ds_read_b64 v[22:23], v1
	v_mov_b32_e32 v21, 0
	v_lshl_add_u64 v[32:33], v[20:21], 3, s[14:15]
	s_waitcnt lgkmcnt(0)
	global_store_dwordx2 v[32:33], v[22:23], off
.LBB8_72:
	s_or_b64 exec, exec, s[2:3]
	v_or_b32_e32 v1, 1, v18
	v_cmp_gt_u32_e32 vcc, s17, v1
	s_and_saveexec_b64 s[2:3], vcc
	s_cbranch_execz .LBB8_74
; %bb.73:
	v_lshlrev_b32_e32 v1, 3, v24
	ds_read_b64 v[22:23], v1
	v_mov_b32_e32 v21, 0
	v_lshl_add_u64 v[32:33], v[20:21], 3, s[14:15]
	s_waitcnt lgkmcnt(0)
	global_store_dwordx2 v[32:33], v[22:23], off offset:8
.LBB8_74:
	s_or_b64 exec, exec, s[2:3]
	v_or_b32_e32 v1, 2, v18
	v_cmp_gt_u32_e32 vcc, s17, v1
	s_and_saveexec_b64 s[2:3], vcc
	s_cbranch_execz .LBB8_76
; %bb.75:
	v_lshlrev_b32_e32 v1, 3, v25
	ds_read_b64 v[22:23], v1
	v_mov_b32_e32 v21, 0
	v_lshl_add_u64 v[24:25], v[20:21], 3, s[14:15]
	s_waitcnt lgkmcnt(0)
	global_store_dwordx2 v[24:25], v[22:23], off offset:16
.LBB8_76:
	;; [unrolled: 13-line block ×6, first 2 shown]
	s_or_b64 exec, exec, s[2:3]
	v_or_b32_e32 v1, 7, v18
	v_cmp_gt_u32_e32 vcc, s17, v1
	s_and_saveexec_b64 s[2:3], vcc
; %bb.85:
	v_mov_b32_e32 v21, 0
	s_or_b64 s[0:1], s[0:1], exec
; %bb.86:
	s_or_b64 exec, exec, s[2:3]
.LBB8_87:
	s_and_saveexec_b64 s[2:3], s[0:1]
	s_cbranch_execz .LBB8_89
; %bb.88:
	v_lshlrev_b32_e32 v1, 3, v28
	ds_read_b64 v[22:23], v1
	v_lshl_add_u64 v[20:21], v[20:21], 3, s[14:15]
	s_waitcnt lgkmcnt(0)
	global_store_dwordx2 v[20:21], v[22:23], off offset:56
.LBB8_89:
	s_or_b64 exec, exec, s[2:3]
	v_lshrrev_b32_e32 v1, 2, v0
	v_lshlrev_b32_e32 v19, 3, v18
	v_lshl_add_u32 v19, v1, 3, v19
	v_and_b32_e32 v1, 24, v1
	v_or_b32_e32 v23, 0x80, v0
	v_add_u32_e32 v24, v1, v18
	v_lshrrev_b32_e32 v1, 2, v23
	v_and_b32_e32 v1, 56, v1
	v_or_b32_e32 v22, 0x100, v0
	s_barrier
	s_barrier
	ds_write2_b64 v19, v[2:3], v[4:5] offset1:1
	ds_write2_b64 v19, v[6:7], v[8:9] offset0:2 offset1:3
	ds_write2_b64 v19, v[10:11], v[12:13] offset0:4 offset1:5
	;; [unrolled: 1-line block ×3, first 2 shown]
	v_add_u32_e32 v4, v1, v18
	v_lshrrev_b32_e32 v1, 2, v22
	v_and_b32_e32 v1, 0x58, v1
	v_or_b32_e32 v21, 0x180, v0
	v_add_u32_e32 v5, v1, v18
	v_lshrrev_b32_e32 v1, 2, v21
	v_and_b32_e32 v1, 0x78, v1
	v_or_b32_e32 v20, 0x200, v0
	;; [unrolled: 4-line block ×4, first 2 shown]
	v_add_u32_e32 v25, v1, v18
	v_lshrrev_b32_e32 v1, 2, v16
	s_mov_b32 s19, 0
	v_and_b32_e32 v1, 0xd8, v1
	s_lshl_b64 s[0:1], s[18:19], 3
	v_add_u32_e32 v26, v1, v18
	v_or_b32_e32 v1, 0x380, v0
	s_add_u32 s0, s10, s0
	v_lshrrev_b32_e32 v2, 2, v1
	s_addc_u32 s1, s11, s1
	v_and_b32_e32 v2, 0xf8, v2
	v_mov_b32_e32 v19, 0
	v_add_u32_e32 v27, v2, v18
	v_lshl_add_u64 v[2:3], s[0:1], 0, v[18:19]
	s_and_b64 vcc, exec, s[24:25]
	s_waitcnt lgkmcnt(0)
	s_cbranch_vccz .LBB8_91
; %bb.90:
	s_barrier
	ds_read_b64 v[8:9], v24
	ds_read_b64 v[10:11], v4 offset:1024
	ds_read_b64 v[12:13], v5 offset:2048
	;; [unrolled: 1-line block ×7, first 2 shown]
	s_waitcnt lgkmcnt(7)
	global_store_dwordx2 v[2:3], v[8:9], off
	s_waitcnt lgkmcnt(6)
	global_store_dwordx2 v[2:3], v[10:11], off offset:1024
	s_waitcnt lgkmcnt(5)
	global_store_dwordx2 v[2:3], v[12:13], off offset:2048
	;; [unrolled: 2-line block ×3, first 2 shown]
	v_add_co_u32_e32 v8, vcc, 0x1000, v2
	s_nop 1
	v_addc_co_u32_e32 v9, vcc, 0, v3, vcc
	s_waitcnt lgkmcnt(3)
	global_store_dwordx2 v[8:9], v[28:29], off
	s_waitcnt lgkmcnt(2)
	global_store_dwordx2 v[8:9], v[30:31], off offset:1024
	s_waitcnt lgkmcnt(1)
	global_store_dwordx2 v[8:9], v[32:33], off offset:2048
	s_mov_b64 s[0:1], -1
	s_cbranch_execz .LBB8_92
	s_branch .LBB8_101
.LBB8_91:
	s_mov_b64 s[0:1], 0
                                        ; implicit-def: $vgpr18_vgpr19
.LBB8_92:
	s_barrier
	s_waitcnt lgkmcnt(0)
	ds_read_b64 v[14:15], v4 offset:1024
	ds_read_b64 v[12:13], v5 offset:2048
	;; [unrolled: 1-line block ×7, first 2 shown]
	s_sub_i32 s2, s16, s18
	v_cmp_gt_u32_e32 vcc, s2, v0
	s_and_saveexec_b64 s[0:1], vcc
	s_cbranch_execnz .LBB8_108
; %bb.93:
	s_or_b64 exec, exec, s[0:1]
	v_cmp_gt_u32_e32 vcc, s2, v23
	s_and_saveexec_b64 s[0:1], vcc
	s_cbranch_execnz .LBB8_109
.LBB8_94:
	s_or_b64 exec, exec, s[0:1]
	v_cmp_gt_u32_e32 vcc, s2, v22
	s_and_saveexec_b64 s[0:1], vcc
	s_cbranch_execnz .LBB8_110
.LBB8_95:
	s_or_b64 exec, exec, s[0:1]
	v_cmp_gt_u32_e32 vcc, s2, v21
	s_and_saveexec_b64 s[0:1], vcc
	s_cbranch_execnz .LBB8_111
.LBB8_96:
	s_or_b64 exec, exec, s[0:1]
	v_cmp_gt_u32_e32 vcc, s2, v20
	s_and_saveexec_b64 s[0:1], vcc
	s_cbranch_execnz .LBB8_112
.LBB8_97:
	s_or_b64 exec, exec, s[0:1]
	v_cmp_gt_u32_e32 vcc, s2, v17
	s_and_saveexec_b64 s[0:1], vcc
	s_cbranch_execnz .LBB8_113
.LBB8_98:
	s_or_b64 exec, exec, s[0:1]
	v_cmp_gt_u32_e32 vcc, s2, v16
	s_and_saveexec_b64 s[0:1], vcc
	s_cbranch_execz .LBB8_100
.LBB8_99:
	s_waitcnt lgkmcnt(2)
	v_add_co_u32_e32 v6, vcc, 0x1000, v2
	s_nop 1
	v_addc_co_u32_e32 v7, vcc, 0, v3, vcc
	s_waitcnt lgkmcnt(1)
	global_store_dwordx2 v[6:7], v[4:5], off offset:2048
.LBB8_100:
	s_or_b64 exec, exec, s[0:1]
	v_cmp_gt_u32_e64 s[0:1], s2, v1
.LBB8_101:
	s_and_saveexec_b64 s[2:3], s[0:1]
	s_cbranch_execz .LBB8_103
; %bb.102:
	v_add_co_u32_e32 v0, vcc, 0x1000, v2
	s_nop 1
	v_addc_co_u32_e32 v1, vcc, 0, v3, vcc
	s_waitcnt lgkmcnt(0)
	global_store_dwordx2 v[0:1], v[18:19], off offset:3072
.LBB8_103:
	s_endpgm
.LBB8_104:
	v_subrev_u32_e32 v19, s19, v0
	v_cmp_gt_u32_e32 vcc, s33, v19
                                        ; implicit-def: $vgpr20_vgpr21
	s_and_saveexec_b64 s[20:21], vcc
	s_xor_b64 s[20:21], exec, s[20:21]
; %bb.105:
	v_lshlrev_b32_e32 v20, 3, v19
	v_mov_b32_e32 v21, 0
	s_mov_b64 s[4:5], exec
	v_lshl_add_u64 v[20:21], s[6:7], 0, v[20:21]
; %bb.106:
	s_or_b64 exec, exec, s[20:21]
	s_and_b64 s[4:5], s[4:5], exec
	s_andn2_saveexec_b64 s[2:3], s[2:3]
	s_cbranch_execz .LBB8_36
.LBB8_107:
	v_mov_b32_e32 v19, 0
	v_lshl_add_u64 v[20:21], s[8:9], 0, v[18:19]
	s_or_b64 s[4:5], s[4:5], exec
	s_or_b64 exec, exec, s[2:3]
	s_and_saveexec_b64 s[2:3], s[4:5]
	s_cbranch_execnz .LBB8_37
	s_branch .LBB8_38
.LBB8_108:
	ds_read_b64 v[24:25], v24
	s_waitcnt lgkmcnt(0)
	global_store_dwordx2 v[2:3], v[24:25], off
	s_or_b64 exec, exec, s[0:1]
	v_cmp_gt_u32_e32 vcc, s2, v23
	s_and_saveexec_b64 s[0:1], vcc
	s_cbranch_execz .LBB8_94
.LBB8_109:
	s_waitcnt lgkmcnt(6)
	global_store_dwordx2 v[2:3], v[14:15], off offset:1024
	s_or_b64 exec, exec, s[0:1]
	v_cmp_gt_u32_e32 vcc, s2, v22
	s_and_saveexec_b64 s[0:1], vcc
	s_cbranch_execz .LBB8_95
.LBB8_110:
	s_waitcnt lgkmcnt(5)
	global_store_dwordx2 v[2:3], v[12:13], off offset:2048
	s_or_b64 exec, exec, s[0:1]
	v_cmp_gt_u32_e32 vcc, s2, v21
	s_and_saveexec_b64 s[0:1], vcc
	s_cbranch_execz .LBB8_96
.LBB8_111:
	s_waitcnt lgkmcnt(4)
	global_store_dwordx2 v[2:3], v[10:11], off offset:3072
	s_or_b64 exec, exec, s[0:1]
	v_cmp_gt_u32_e32 vcc, s2, v20
	s_and_saveexec_b64 s[0:1], vcc
	s_cbranch_execz .LBB8_97
.LBB8_112:
	s_waitcnt lgkmcnt(4)
	v_add_co_u32_e32 v10, vcc, 0x1000, v2
	s_nop 1
	v_addc_co_u32_e32 v11, vcc, 0, v3, vcc
	s_waitcnt lgkmcnt(3)
	global_store_dwordx2 v[10:11], v[8:9], off
	s_or_b64 exec, exec, s[0:1]
	v_cmp_gt_u32_e32 vcc, s2, v17
	s_and_saveexec_b64 s[0:1], vcc
	s_cbranch_execz .LBB8_98
.LBB8_113:
	s_waitcnt lgkmcnt(3)
	v_add_co_u32_e32 v8, vcc, 0x1000, v2
	s_nop 1
	v_addc_co_u32_e32 v9, vcc, 0, v3, vcc
	s_waitcnt lgkmcnt(2)
	global_store_dwordx2 v[8:9], v[6:7], off offset:1024
	s_or_b64 exec, exec, s[0:1]
	v_cmp_gt_u32_e32 vcc, s2, v16
	s_and_saveexec_b64 s[0:1], vcc
	s_cbranch_execnz .LBB8_99
	s_branch .LBB8_100
	.section	.rodata,"a",@progbits
	.p2align	6, 0x0
	.amdhsa_kernel _ZN7rocprim17ROCPRIM_304000_NS6detail35device_block_merge_mergepath_kernelINS1_37wrapped_merge_sort_block_merge_configINS0_14default_configEmN2at4cuda3cub6detail10OpaqueTypeILi8EEEEEPmSC_PSA_SD_jNS1_19radix_merge_compareILb1ELb1EmNS0_19identity_decomposerEEEEEvT0_T1_T2_T3_T4_SL_jT5_PKSL_NS1_7vsmem_tE
		.amdhsa_group_segment_fixed_size 8448
		.amdhsa_private_segment_fixed_size 0
		.amdhsa_kernarg_size 328
		.amdhsa_user_sgpr_count 2
		.amdhsa_user_sgpr_dispatch_ptr 0
		.amdhsa_user_sgpr_queue_ptr 0
		.amdhsa_user_sgpr_kernarg_segment_ptr 1
		.amdhsa_user_sgpr_dispatch_id 0
		.amdhsa_user_sgpr_kernarg_preload_length 0
		.amdhsa_user_sgpr_kernarg_preload_offset 0
		.amdhsa_user_sgpr_private_segment_size 0
		.amdhsa_uses_dynamic_stack 0
		.amdhsa_enable_private_segment 0
		.amdhsa_system_sgpr_workgroup_id_x 1
		.amdhsa_system_sgpr_workgroup_id_y 1
		.amdhsa_system_sgpr_workgroup_id_z 1
		.amdhsa_system_sgpr_workgroup_info 0
		.amdhsa_system_vgpr_workitem_id 0
		.amdhsa_next_free_vgpr 49
		.amdhsa_next_free_sgpr 38
		.amdhsa_accum_offset 52
		.amdhsa_reserve_vcc 1
		.amdhsa_float_round_mode_32 0
		.amdhsa_float_round_mode_16_64 0
		.amdhsa_float_denorm_mode_32 3
		.amdhsa_float_denorm_mode_16_64 3
		.amdhsa_dx10_clamp 1
		.amdhsa_ieee_mode 1
		.amdhsa_fp16_overflow 0
		.amdhsa_tg_split 0
		.amdhsa_exception_fp_ieee_invalid_op 0
		.amdhsa_exception_fp_denorm_src 0
		.amdhsa_exception_fp_ieee_div_zero 0
		.amdhsa_exception_fp_ieee_overflow 0
		.amdhsa_exception_fp_ieee_underflow 0
		.amdhsa_exception_fp_ieee_inexact 0
		.amdhsa_exception_int_div_zero 0
	.end_amdhsa_kernel
	.section	.text._ZN7rocprim17ROCPRIM_304000_NS6detail35device_block_merge_mergepath_kernelINS1_37wrapped_merge_sort_block_merge_configINS0_14default_configEmN2at4cuda3cub6detail10OpaqueTypeILi8EEEEEPmSC_PSA_SD_jNS1_19radix_merge_compareILb1ELb1EmNS0_19identity_decomposerEEEEEvT0_T1_T2_T3_T4_SL_jT5_PKSL_NS1_7vsmem_tE,"axG",@progbits,_ZN7rocprim17ROCPRIM_304000_NS6detail35device_block_merge_mergepath_kernelINS1_37wrapped_merge_sort_block_merge_configINS0_14default_configEmN2at4cuda3cub6detail10OpaqueTypeILi8EEEEEPmSC_PSA_SD_jNS1_19radix_merge_compareILb1ELb1EmNS0_19identity_decomposerEEEEEvT0_T1_T2_T3_T4_SL_jT5_PKSL_NS1_7vsmem_tE,comdat
.Lfunc_end8:
	.size	_ZN7rocprim17ROCPRIM_304000_NS6detail35device_block_merge_mergepath_kernelINS1_37wrapped_merge_sort_block_merge_configINS0_14default_configEmN2at4cuda3cub6detail10OpaqueTypeILi8EEEEEPmSC_PSA_SD_jNS1_19radix_merge_compareILb1ELb1EmNS0_19identity_decomposerEEEEEvT0_T1_T2_T3_T4_SL_jT5_PKSL_NS1_7vsmem_tE, .Lfunc_end8-_ZN7rocprim17ROCPRIM_304000_NS6detail35device_block_merge_mergepath_kernelINS1_37wrapped_merge_sort_block_merge_configINS0_14default_configEmN2at4cuda3cub6detail10OpaqueTypeILi8EEEEEPmSC_PSA_SD_jNS1_19radix_merge_compareILb1ELb1EmNS0_19identity_decomposerEEEEEvT0_T1_T2_T3_T4_SL_jT5_PKSL_NS1_7vsmem_tE
                                        ; -- End function
	.set _ZN7rocprim17ROCPRIM_304000_NS6detail35device_block_merge_mergepath_kernelINS1_37wrapped_merge_sort_block_merge_configINS0_14default_configEmN2at4cuda3cub6detail10OpaqueTypeILi8EEEEEPmSC_PSA_SD_jNS1_19radix_merge_compareILb1ELb1EmNS0_19identity_decomposerEEEEEvT0_T1_T2_T3_T4_SL_jT5_PKSL_NS1_7vsmem_tE.num_vgpr, 49
	.set _ZN7rocprim17ROCPRIM_304000_NS6detail35device_block_merge_mergepath_kernelINS1_37wrapped_merge_sort_block_merge_configINS0_14default_configEmN2at4cuda3cub6detail10OpaqueTypeILi8EEEEEPmSC_PSA_SD_jNS1_19radix_merge_compareILb1ELb1EmNS0_19identity_decomposerEEEEEvT0_T1_T2_T3_T4_SL_jT5_PKSL_NS1_7vsmem_tE.num_agpr, 0
	.set _ZN7rocprim17ROCPRIM_304000_NS6detail35device_block_merge_mergepath_kernelINS1_37wrapped_merge_sort_block_merge_configINS0_14default_configEmN2at4cuda3cub6detail10OpaqueTypeILi8EEEEEPmSC_PSA_SD_jNS1_19radix_merge_compareILb1ELb1EmNS0_19identity_decomposerEEEEEvT0_T1_T2_T3_T4_SL_jT5_PKSL_NS1_7vsmem_tE.numbered_sgpr, 38
	.set _ZN7rocprim17ROCPRIM_304000_NS6detail35device_block_merge_mergepath_kernelINS1_37wrapped_merge_sort_block_merge_configINS0_14default_configEmN2at4cuda3cub6detail10OpaqueTypeILi8EEEEEPmSC_PSA_SD_jNS1_19radix_merge_compareILb1ELb1EmNS0_19identity_decomposerEEEEEvT0_T1_T2_T3_T4_SL_jT5_PKSL_NS1_7vsmem_tE.num_named_barrier, 0
	.set _ZN7rocprim17ROCPRIM_304000_NS6detail35device_block_merge_mergepath_kernelINS1_37wrapped_merge_sort_block_merge_configINS0_14default_configEmN2at4cuda3cub6detail10OpaqueTypeILi8EEEEEPmSC_PSA_SD_jNS1_19radix_merge_compareILb1ELb1EmNS0_19identity_decomposerEEEEEvT0_T1_T2_T3_T4_SL_jT5_PKSL_NS1_7vsmem_tE.private_seg_size, 0
	.set _ZN7rocprim17ROCPRIM_304000_NS6detail35device_block_merge_mergepath_kernelINS1_37wrapped_merge_sort_block_merge_configINS0_14default_configEmN2at4cuda3cub6detail10OpaqueTypeILi8EEEEEPmSC_PSA_SD_jNS1_19radix_merge_compareILb1ELb1EmNS0_19identity_decomposerEEEEEvT0_T1_T2_T3_T4_SL_jT5_PKSL_NS1_7vsmem_tE.uses_vcc, 1
	.set _ZN7rocprim17ROCPRIM_304000_NS6detail35device_block_merge_mergepath_kernelINS1_37wrapped_merge_sort_block_merge_configINS0_14default_configEmN2at4cuda3cub6detail10OpaqueTypeILi8EEEEEPmSC_PSA_SD_jNS1_19radix_merge_compareILb1ELb1EmNS0_19identity_decomposerEEEEEvT0_T1_T2_T3_T4_SL_jT5_PKSL_NS1_7vsmem_tE.uses_flat_scratch, 0
	.set _ZN7rocprim17ROCPRIM_304000_NS6detail35device_block_merge_mergepath_kernelINS1_37wrapped_merge_sort_block_merge_configINS0_14default_configEmN2at4cuda3cub6detail10OpaqueTypeILi8EEEEEPmSC_PSA_SD_jNS1_19radix_merge_compareILb1ELb1EmNS0_19identity_decomposerEEEEEvT0_T1_T2_T3_T4_SL_jT5_PKSL_NS1_7vsmem_tE.has_dyn_sized_stack, 0
	.set _ZN7rocprim17ROCPRIM_304000_NS6detail35device_block_merge_mergepath_kernelINS1_37wrapped_merge_sort_block_merge_configINS0_14default_configEmN2at4cuda3cub6detail10OpaqueTypeILi8EEEEEPmSC_PSA_SD_jNS1_19radix_merge_compareILb1ELb1EmNS0_19identity_decomposerEEEEEvT0_T1_T2_T3_T4_SL_jT5_PKSL_NS1_7vsmem_tE.has_recursion, 0
	.set _ZN7rocprim17ROCPRIM_304000_NS6detail35device_block_merge_mergepath_kernelINS1_37wrapped_merge_sort_block_merge_configINS0_14default_configEmN2at4cuda3cub6detail10OpaqueTypeILi8EEEEEPmSC_PSA_SD_jNS1_19radix_merge_compareILb1ELb1EmNS0_19identity_decomposerEEEEEvT0_T1_T2_T3_T4_SL_jT5_PKSL_NS1_7vsmem_tE.has_indirect_call, 0
	.section	.AMDGPU.csdata,"",@progbits
; Kernel info:
; codeLenInByte = 5716
; TotalNumSgprs: 44
; NumVgprs: 49
; NumAgprs: 0
; TotalNumVgprs: 49
; ScratchSize: 0
; MemoryBound: 1
; FloatMode: 240
; IeeeMode: 1
; LDSByteSize: 8448 bytes/workgroup (compile time only)
; SGPRBlocks: 5
; VGPRBlocks: 6
; NumSGPRsForWavesPerEU: 44
; NumVGPRsForWavesPerEU: 49
; AccumOffset: 52
; Occupancy: 8
; WaveLimiterHint : 1
; COMPUTE_PGM_RSRC2:SCRATCH_EN: 0
; COMPUTE_PGM_RSRC2:USER_SGPR: 2
; COMPUTE_PGM_RSRC2:TRAP_HANDLER: 0
; COMPUTE_PGM_RSRC2:TGID_X_EN: 1
; COMPUTE_PGM_RSRC2:TGID_Y_EN: 1
; COMPUTE_PGM_RSRC2:TGID_Z_EN: 1
; COMPUTE_PGM_RSRC2:TIDIG_COMP_CNT: 0
; COMPUTE_PGM_RSRC3_GFX90A:ACCUM_OFFSET: 12
; COMPUTE_PGM_RSRC3_GFX90A:TG_SPLIT: 0
	.section	.text._ZN7rocprim17ROCPRIM_304000_NS6detail33device_block_merge_oddeven_kernelINS1_37wrapped_merge_sort_block_merge_configINS0_14default_configEmN2at4cuda3cub6detail10OpaqueTypeILi8EEEEEPmSC_PSA_SD_jNS1_19radix_merge_compareILb1ELb1EmNS0_19identity_decomposerEEEEEvT0_T1_T2_T3_T4_SL_T5_,"axG",@progbits,_ZN7rocprim17ROCPRIM_304000_NS6detail33device_block_merge_oddeven_kernelINS1_37wrapped_merge_sort_block_merge_configINS0_14default_configEmN2at4cuda3cub6detail10OpaqueTypeILi8EEEEEPmSC_PSA_SD_jNS1_19radix_merge_compareILb1ELb1EmNS0_19identity_decomposerEEEEEvT0_T1_T2_T3_T4_SL_T5_,comdat
	.protected	_ZN7rocprim17ROCPRIM_304000_NS6detail33device_block_merge_oddeven_kernelINS1_37wrapped_merge_sort_block_merge_configINS0_14default_configEmN2at4cuda3cub6detail10OpaqueTypeILi8EEEEEPmSC_PSA_SD_jNS1_19radix_merge_compareILb1ELb1EmNS0_19identity_decomposerEEEEEvT0_T1_T2_T3_T4_SL_T5_ ; -- Begin function _ZN7rocprim17ROCPRIM_304000_NS6detail33device_block_merge_oddeven_kernelINS1_37wrapped_merge_sort_block_merge_configINS0_14default_configEmN2at4cuda3cub6detail10OpaqueTypeILi8EEEEEPmSC_PSA_SD_jNS1_19radix_merge_compareILb1ELb1EmNS0_19identity_decomposerEEEEEvT0_T1_T2_T3_T4_SL_T5_
	.globl	_ZN7rocprim17ROCPRIM_304000_NS6detail33device_block_merge_oddeven_kernelINS1_37wrapped_merge_sort_block_merge_configINS0_14default_configEmN2at4cuda3cub6detail10OpaqueTypeILi8EEEEEPmSC_PSA_SD_jNS1_19radix_merge_compareILb1ELb1EmNS0_19identity_decomposerEEEEEvT0_T1_T2_T3_T4_SL_T5_
	.p2align	8
	.type	_ZN7rocprim17ROCPRIM_304000_NS6detail33device_block_merge_oddeven_kernelINS1_37wrapped_merge_sort_block_merge_configINS0_14default_configEmN2at4cuda3cub6detail10OpaqueTypeILi8EEEEEPmSC_PSA_SD_jNS1_19radix_merge_compareILb1ELb1EmNS0_19identity_decomposerEEEEEvT0_T1_T2_T3_T4_SL_T5_,@function
_ZN7rocprim17ROCPRIM_304000_NS6detail33device_block_merge_oddeven_kernelINS1_37wrapped_merge_sort_block_merge_configINS0_14default_configEmN2at4cuda3cub6detail10OpaqueTypeILi8EEEEEPmSC_PSA_SD_jNS1_19radix_merge_compareILb1ELb1EmNS0_19identity_decomposerEEEEEvT0_T1_T2_T3_T4_SL_T5_: ; @_ZN7rocprim17ROCPRIM_304000_NS6detail33device_block_merge_oddeven_kernelINS1_37wrapped_merge_sort_block_merge_configINS0_14default_configEmN2at4cuda3cub6detail10OpaqueTypeILi8EEEEEPmSC_PSA_SD_jNS1_19radix_merge_compareILb1ELb1EmNS0_19identity_decomposerEEEEEvT0_T1_T2_T3_T4_SL_T5_
; %bb.0:
	s_load_dwordx2 s[18:19], s[0:1], 0x20
	s_waitcnt lgkmcnt(0)
	s_lshr_b32 s3, s18, 8
	s_cmp_eq_u32 s2, s3
	s_cselect_b64 s[16:17], -1, 0
	s_cmp_lg_u32 s2, s3
	s_cselect_b64 s[4:5], -1, 0
	s_lshl_b32 s20, s2, 8
	s_sub_i32 s3, s18, s20
	v_cmp_gt_u32_e64 s[6:7], s3, v0
	s_or_b64 s[4:5], s[4:5], s[6:7]
	s_and_saveexec_b64 s[8:9], s[4:5]
	s_cbranch_execz .LBB9_24
; %bb.1:
	s_load_dwordx8 s[8:15], s[0:1], 0x0
	s_mov_b32 s21, 0
	s_lshl_b64 s[4:5], s[20:21], 3
	v_lshlrev_b32_e32 v1, 3, v0
	v_add_u32_e32 v0, s20, v0
	s_waitcnt lgkmcnt(0)
	s_add_u32 s22, s8, s4
	s_addc_u32 s23, s9, s5
	s_add_u32 s4, s12, s4
	s_addc_u32 s5, s13, s5
	global_load_dwordx2 v[2:3], v1, s[4:5]
	global_load_dwordx2 v[4:5], v1, s[22:23]
	s_lshr_b32 s3, s19, 8
	s_sub_i32 s4, 0, s3
	s_and_b32 s2, s2, s4
	s_and_b32 s3, s2, s3
	s_lshl_b32 s21, s2, 8
	s_sub_i32 s12, 0, s19
	s_cmp_eq_u32 s3, 0
	s_cselect_b64 s[4:5], -1, 0
	s_and_b64 s[2:3], s[4:5], exec
	s_cselect_b32 s12, s19, s12
	s_add_i32 s12, s12, s21
	s_mov_b64 s[2:3], -1
	s_cmp_gt_u32 s18, s12
	s_cbranch_scc1 .LBB9_9
; %bb.2:
	s_and_b64 vcc, exec, s[16:17]
	s_cbranch_vccz .LBB9_6
; %bb.3:
	v_cmp_gt_u32_e32 vcc, s18, v0
	s_and_saveexec_b64 s[2:3], vcc
	s_cbranch_execz .LBB9_5
; %bb.4:
	v_mov_b32_e32 v1, 0
	v_lshlrev_b64 v[6:7], 3, v[0:1]
	v_lshl_add_u64 v[8:9], s[14:15], 0, v[6:7]
	v_lshl_add_u64 v[6:7], s[10:11], 0, v[6:7]
	s_waitcnt vmcnt(0)
	global_store_dwordx2 v[6:7], v[4:5], off
	global_store_dwordx2 v[8:9], v[2:3], off
.LBB9_5:
	s_or_b64 exec, exec, s[2:3]
	s_mov_b64 s[2:3], 0
.LBB9_6:
	s_andn2_b64 vcc, exec, s[2:3]
	s_cbranch_vccnz .LBB9_8
; %bb.7:
	v_mov_b32_e32 v1, 0
	v_lshlrev_b64 v[6:7], 3, v[0:1]
	v_lshl_add_u64 v[8:9], s[10:11], 0, v[6:7]
	v_lshl_add_u64 v[6:7], s[14:15], 0, v[6:7]
	s_waitcnt vmcnt(0)
	global_store_dwordx2 v[8:9], v[4:5], off
	global_store_dwordx2 v[6:7], v[2:3], off
.LBB9_8:
	s_mov_b64 s[2:3], 0
.LBB9_9:
	s_andn2_b64 vcc, exec, s[2:3]
	s_cbranch_vccnz .LBB9_24
; %bb.10:
	s_load_dwordx2 s[0:1], s[0:1], 0x28
	s_min_u32 s13, s12, s18
	s_add_i32 s2, s13, s19
	s_min_u32 s18, s2, s18
	s_min_u32 s2, s21, s13
	s_add_i32 s21, s21, s13
	v_subrev_u32_e32 v0, s21, v0
	v_add_u32_e32 v8, s2, v0
	s_waitcnt vmcnt(0) lgkmcnt(0)
	v_and_b32_e32 v1, s1, v5
	v_and_b32_e32 v0, s0, v4
	s_mov_b64 s[2:3], -1
	s_and_b64 vcc, exec, s[16:17]
	s_cbranch_vccz .LBB9_18
; %bb.11:
	s_and_saveexec_b64 s[2:3], s[6:7]
	s_cbranch_execz .LBB9_17
; %bb.12:
	s_cmp_ge_u32 s12, s18
	v_mov_b32_e32 v9, s13
	s_cbranch_scc1 .LBB9_16
; %bb.13:
	s_mov_b64 s[6:7], 0
	v_mov_b32_e32 v10, s18
	v_mov_b32_e32 v9, s13
	;; [unrolled: 1-line block ×3, first 2 shown]
.LBB9_14:                               ; =>This Inner Loop Header: Depth=1
	v_add_u32_e32 v6, v9, v10
	v_lshrrev_b32_e32 v6, 1, v6
	v_lshl_add_u64 v[12:13], v[6:7], 3, s[8:9]
	global_load_dwordx2 v[12:13], v[12:13], off
	v_add_u32_e32 v11, 1, v6
	s_waitcnt vmcnt(0)
	v_and_b32_e32 v13, s1, v13
	v_and_b32_e32 v12, s0, v12
	v_cmp_gt_u64_e32 vcc, v[12:13], v[0:1]
	s_nop 1
	v_cndmask_b32_e64 v14, 0, 1, vcc
	v_cmp_le_u64_e32 vcc, v[0:1], v[12:13]
	s_nop 1
	v_cndmask_b32_e64 v12, 0, 1, vcc
	v_cndmask_b32_e64 v12, v12, v14, s[4:5]
	v_and_b32_e32 v12, 1, v12
	v_cmp_eq_u32_e32 vcc, 1, v12
	s_nop 1
	v_cndmask_b32_e32 v10, v6, v10, vcc
	v_cndmask_b32_e32 v9, v9, v11, vcc
	v_cmp_ge_u32_e32 vcc, v9, v10
	s_or_b64 s[6:7], vcc, s[6:7]
	s_andn2_b64 exec, exec, s[6:7]
	s_cbranch_execnz .LBB9_14
; %bb.15:
	s_or_b64 exec, exec, s[6:7]
.LBB9_16:
	v_add_u32_e32 v6, v9, v8
	v_mov_b32_e32 v7, 0
	v_lshlrev_b64 v[6:7], 3, v[6:7]
	v_lshl_add_u64 v[10:11], s[10:11], 0, v[6:7]
	v_lshl_add_u64 v[6:7], s[14:15], 0, v[6:7]
	global_store_dwordx2 v[10:11], v[4:5], off
	global_store_dwordx2 v[6:7], v[2:3], off
.LBB9_17:
	s_or_b64 exec, exec, s[2:3]
	s_mov_b64 s[2:3], 0
.LBB9_18:
	s_andn2_b64 vcc, exec, s[2:3]
	s_cbranch_vccnz .LBB9_24
; %bb.19:
	s_cmp_ge_u32 s12, s18
	v_mov_b32_e32 v9, s13
	s_cbranch_scc1 .LBB9_23
; %bb.20:
	s_mov_b64 s[2:3], 0
	v_mov_b32_e32 v10, s18
	v_mov_b32_e32 v9, s13
	;; [unrolled: 1-line block ×3, first 2 shown]
.LBB9_21:                               ; =>This Inner Loop Header: Depth=1
	v_add_u32_e32 v6, v9, v10
	v_lshrrev_b32_e32 v6, 1, v6
	v_lshl_add_u64 v[12:13], v[6:7], 3, s[8:9]
	global_load_dwordx2 v[12:13], v[12:13], off
	v_add_u32_e32 v11, 1, v6
	s_waitcnt vmcnt(0)
	v_and_b32_e32 v13, s1, v13
	v_and_b32_e32 v12, s0, v12
	v_cmp_gt_u64_e32 vcc, v[12:13], v[0:1]
	s_nop 1
	v_cndmask_b32_e64 v14, 0, 1, vcc
	v_cmp_le_u64_e32 vcc, v[0:1], v[12:13]
	s_nop 1
	v_cndmask_b32_e64 v12, 0, 1, vcc
	v_cndmask_b32_e64 v12, v12, v14, s[4:5]
	v_and_b32_e32 v12, 1, v12
	v_cmp_eq_u32_e32 vcc, 1, v12
	s_nop 1
	v_cndmask_b32_e32 v10, v6, v10, vcc
	v_cndmask_b32_e32 v9, v9, v11, vcc
	v_cmp_ge_u32_e32 vcc, v9, v10
	s_or_b64 s[2:3], vcc, s[2:3]
	s_andn2_b64 exec, exec, s[2:3]
	s_cbranch_execnz .LBB9_21
; %bb.22:
	s_or_b64 exec, exec, s[2:3]
.LBB9_23:
	v_add_u32_e32 v0, v9, v8
	v_mov_b32_e32 v1, 0
	v_lshlrev_b64 v[0:1], 3, v[0:1]
	v_lshl_add_u64 v[6:7], s[10:11], 0, v[0:1]
	v_lshl_add_u64 v[0:1], s[14:15], 0, v[0:1]
	global_store_dwordx2 v[6:7], v[4:5], off
	global_store_dwordx2 v[0:1], v[2:3], off
.LBB9_24:
	s_endpgm
	.section	.rodata,"a",@progbits
	.p2align	6, 0x0
	.amdhsa_kernel _ZN7rocprim17ROCPRIM_304000_NS6detail33device_block_merge_oddeven_kernelINS1_37wrapped_merge_sort_block_merge_configINS0_14default_configEmN2at4cuda3cub6detail10OpaqueTypeILi8EEEEEPmSC_PSA_SD_jNS1_19radix_merge_compareILb1ELb1EmNS0_19identity_decomposerEEEEEvT0_T1_T2_T3_T4_SL_T5_
		.amdhsa_group_segment_fixed_size 0
		.amdhsa_private_segment_fixed_size 0
		.amdhsa_kernarg_size 48
		.amdhsa_user_sgpr_count 2
		.amdhsa_user_sgpr_dispatch_ptr 0
		.amdhsa_user_sgpr_queue_ptr 0
		.amdhsa_user_sgpr_kernarg_segment_ptr 1
		.amdhsa_user_sgpr_dispatch_id 0
		.amdhsa_user_sgpr_kernarg_preload_length 0
		.amdhsa_user_sgpr_kernarg_preload_offset 0
		.amdhsa_user_sgpr_private_segment_size 0
		.amdhsa_uses_dynamic_stack 0
		.amdhsa_enable_private_segment 0
		.amdhsa_system_sgpr_workgroup_id_x 1
		.amdhsa_system_sgpr_workgroup_id_y 0
		.amdhsa_system_sgpr_workgroup_id_z 0
		.amdhsa_system_sgpr_workgroup_info 0
		.amdhsa_system_vgpr_workitem_id 0
		.amdhsa_next_free_vgpr 15
		.amdhsa_next_free_sgpr 24
		.amdhsa_accum_offset 16
		.amdhsa_reserve_vcc 1
		.amdhsa_float_round_mode_32 0
		.amdhsa_float_round_mode_16_64 0
		.amdhsa_float_denorm_mode_32 3
		.amdhsa_float_denorm_mode_16_64 3
		.amdhsa_dx10_clamp 1
		.amdhsa_ieee_mode 1
		.amdhsa_fp16_overflow 0
		.amdhsa_tg_split 0
		.amdhsa_exception_fp_ieee_invalid_op 0
		.amdhsa_exception_fp_denorm_src 0
		.amdhsa_exception_fp_ieee_div_zero 0
		.amdhsa_exception_fp_ieee_overflow 0
		.amdhsa_exception_fp_ieee_underflow 0
		.amdhsa_exception_fp_ieee_inexact 0
		.amdhsa_exception_int_div_zero 0
	.end_amdhsa_kernel
	.section	.text._ZN7rocprim17ROCPRIM_304000_NS6detail33device_block_merge_oddeven_kernelINS1_37wrapped_merge_sort_block_merge_configINS0_14default_configEmN2at4cuda3cub6detail10OpaqueTypeILi8EEEEEPmSC_PSA_SD_jNS1_19radix_merge_compareILb1ELb1EmNS0_19identity_decomposerEEEEEvT0_T1_T2_T3_T4_SL_T5_,"axG",@progbits,_ZN7rocprim17ROCPRIM_304000_NS6detail33device_block_merge_oddeven_kernelINS1_37wrapped_merge_sort_block_merge_configINS0_14default_configEmN2at4cuda3cub6detail10OpaqueTypeILi8EEEEEPmSC_PSA_SD_jNS1_19radix_merge_compareILb1ELb1EmNS0_19identity_decomposerEEEEEvT0_T1_T2_T3_T4_SL_T5_,comdat
.Lfunc_end9:
	.size	_ZN7rocprim17ROCPRIM_304000_NS6detail33device_block_merge_oddeven_kernelINS1_37wrapped_merge_sort_block_merge_configINS0_14default_configEmN2at4cuda3cub6detail10OpaqueTypeILi8EEEEEPmSC_PSA_SD_jNS1_19radix_merge_compareILb1ELb1EmNS0_19identity_decomposerEEEEEvT0_T1_T2_T3_T4_SL_T5_, .Lfunc_end9-_ZN7rocprim17ROCPRIM_304000_NS6detail33device_block_merge_oddeven_kernelINS1_37wrapped_merge_sort_block_merge_configINS0_14default_configEmN2at4cuda3cub6detail10OpaqueTypeILi8EEEEEPmSC_PSA_SD_jNS1_19radix_merge_compareILb1ELb1EmNS0_19identity_decomposerEEEEEvT0_T1_T2_T3_T4_SL_T5_
                                        ; -- End function
	.set _ZN7rocprim17ROCPRIM_304000_NS6detail33device_block_merge_oddeven_kernelINS1_37wrapped_merge_sort_block_merge_configINS0_14default_configEmN2at4cuda3cub6detail10OpaqueTypeILi8EEEEEPmSC_PSA_SD_jNS1_19radix_merge_compareILb1ELb1EmNS0_19identity_decomposerEEEEEvT0_T1_T2_T3_T4_SL_T5_.num_vgpr, 15
	.set _ZN7rocprim17ROCPRIM_304000_NS6detail33device_block_merge_oddeven_kernelINS1_37wrapped_merge_sort_block_merge_configINS0_14default_configEmN2at4cuda3cub6detail10OpaqueTypeILi8EEEEEPmSC_PSA_SD_jNS1_19radix_merge_compareILb1ELb1EmNS0_19identity_decomposerEEEEEvT0_T1_T2_T3_T4_SL_T5_.num_agpr, 0
	.set _ZN7rocprim17ROCPRIM_304000_NS6detail33device_block_merge_oddeven_kernelINS1_37wrapped_merge_sort_block_merge_configINS0_14default_configEmN2at4cuda3cub6detail10OpaqueTypeILi8EEEEEPmSC_PSA_SD_jNS1_19radix_merge_compareILb1ELb1EmNS0_19identity_decomposerEEEEEvT0_T1_T2_T3_T4_SL_T5_.numbered_sgpr, 24
	.set _ZN7rocprim17ROCPRIM_304000_NS6detail33device_block_merge_oddeven_kernelINS1_37wrapped_merge_sort_block_merge_configINS0_14default_configEmN2at4cuda3cub6detail10OpaqueTypeILi8EEEEEPmSC_PSA_SD_jNS1_19radix_merge_compareILb1ELb1EmNS0_19identity_decomposerEEEEEvT0_T1_T2_T3_T4_SL_T5_.num_named_barrier, 0
	.set _ZN7rocprim17ROCPRIM_304000_NS6detail33device_block_merge_oddeven_kernelINS1_37wrapped_merge_sort_block_merge_configINS0_14default_configEmN2at4cuda3cub6detail10OpaqueTypeILi8EEEEEPmSC_PSA_SD_jNS1_19radix_merge_compareILb1ELb1EmNS0_19identity_decomposerEEEEEvT0_T1_T2_T3_T4_SL_T5_.private_seg_size, 0
	.set _ZN7rocprim17ROCPRIM_304000_NS6detail33device_block_merge_oddeven_kernelINS1_37wrapped_merge_sort_block_merge_configINS0_14default_configEmN2at4cuda3cub6detail10OpaqueTypeILi8EEEEEPmSC_PSA_SD_jNS1_19radix_merge_compareILb1ELb1EmNS0_19identity_decomposerEEEEEvT0_T1_T2_T3_T4_SL_T5_.uses_vcc, 1
	.set _ZN7rocprim17ROCPRIM_304000_NS6detail33device_block_merge_oddeven_kernelINS1_37wrapped_merge_sort_block_merge_configINS0_14default_configEmN2at4cuda3cub6detail10OpaqueTypeILi8EEEEEPmSC_PSA_SD_jNS1_19radix_merge_compareILb1ELb1EmNS0_19identity_decomposerEEEEEvT0_T1_T2_T3_T4_SL_T5_.uses_flat_scratch, 0
	.set _ZN7rocprim17ROCPRIM_304000_NS6detail33device_block_merge_oddeven_kernelINS1_37wrapped_merge_sort_block_merge_configINS0_14default_configEmN2at4cuda3cub6detail10OpaqueTypeILi8EEEEEPmSC_PSA_SD_jNS1_19radix_merge_compareILb1ELb1EmNS0_19identity_decomposerEEEEEvT0_T1_T2_T3_T4_SL_T5_.has_dyn_sized_stack, 0
	.set _ZN7rocprim17ROCPRIM_304000_NS6detail33device_block_merge_oddeven_kernelINS1_37wrapped_merge_sort_block_merge_configINS0_14default_configEmN2at4cuda3cub6detail10OpaqueTypeILi8EEEEEPmSC_PSA_SD_jNS1_19radix_merge_compareILb1ELb1EmNS0_19identity_decomposerEEEEEvT0_T1_T2_T3_T4_SL_T5_.has_recursion, 0
	.set _ZN7rocprim17ROCPRIM_304000_NS6detail33device_block_merge_oddeven_kernelINS1_37wrapped_merge_sort_block_merge_configINS0_14default_configEmN2at4cuda3cub6detail10OpaqueTypeILi8EEEEEPmSC_PSA_SD_jNS1_19radix_merge_compareILb1ELb1EmNS0_19identity_decomposerEEEEEvT0_T1_T2_T3_T4_SL_T5_.has_indirect_call, 0
	.section	.AMDGPU.csdata,"",@progbits
; Kernel info:
; codeLenInByte = 800
; TotalNumSgprs: 30
; NumVgprs: 15
; NumAgprs: 0
; TotalNumVgprs: 15
; ScratchSize: 0
; MemoryBound: 0
; FloatMode: 240
; IeeeMode: 1
; LDSByteSize: 0 bytes/workgroup (compile time only)
; SGPRBlocks: 3
; VGPRBlocks: 1
; NumSGPRsForWavesPerEU: 30
; NumVGPRsForWavesPerEU: 15
; AccumOffset: 16
; Occupancy: 8
; WaveLimiterHint : 0
; COMPUTE_PGM_RSRC2:SCRATCH_EN: 0
; COMPUTE_PGM_RSRC2:USER_SGPR: 2
; COMPUTE_PGM_RSRC2:TRAP_HANDLER: 0
; COMPUTE_PGM_RSRC2:TGID_X_EN: 1
; COMPUTE_PGM_RSRC2:TGID_Y_EN: 0
; COMPUTE_PGM_RSRC2:TGID_Z_EN: 0
; COMPUTE_PGM_RSRC2:TIDIG_COMP_CNT: 0
; COMPUTE_PGM_RSRC3_GFX90A:ACCUM_OFFSET: 3
; COMPUTE_PGM_RSRC3_GFX90A:TG_SPLIT: 0
	.section	.text._ZN7rocprim17ROCPRIM_304000_NS6detail26onesweep_histograms_kernelINS1_34wrapped_radix_sort_onesweep_configINS0_14default_configEmN2at4cuda3cub6detail10OpaqueTypeILi8EEEEELb1EPKmmNS0_19identity_decomposerEEEvT1_PT2_SG_SG_T3_jj,"axG",@progbits,_ZN7rocprim17ROCPRIM_304000_NS6detail26onesweep_histograms_kernelINS1_34wrapped_radix_sort_onesweep_configINS0_14default_configEmN2at4cuda3cub6detail10OpaqueTypeILi8EEEEELb1EPKmmNS0_19identity_decomposerEEEvT1_PT2_SG_SG_T3_jj,comdat
	.protected	_ZN7rocprim17ROCPRIM_304000_NS6detail26onesweep_histograms_kernelINS1_34wrapped_radix_sort_onesweep_configINS0_14default_configEmN2at4cuda3cub6detail10OpaqueTypeILi8EEEEELb1EPKmmNS0_19identity_decomposerEEEvT1_PT2_SG_SG_T3_jj ; -- Begin function _ZN7rocprim17ROCPRIM_304000_NS6detail26onesweep_histograms_kernelINS1_34wrapped_radix_sort_onesweep_configINS0_14default_configEmN2at4cuda3cub6detail10OpaqueTypeILi8EEEEELb1EPKmmNS0_19identity_decomposerEEEvT1_PT2_SG_SG_T3_jj
	.globl	_ZN7rocprim17ROCPRIM_304000_NS6detail26onesweep_histograms_kernelINS1_34wrapped_radix_sort_onesweep_configINS0_14default_configEmN2at4cuda3cub6detail10OpaqueTypeILi8EEEEELb1EPKmmNS0_19identity_decomposerEEEvT1_PT2_SG_SG_T3_jj
	.p2align	8
	.type	_ZN7rocprim17ROCPRIM_304000_NS6detail26onesweep_histograms_kernelINS1_34wrapped_radix_sort_onesweep_configINS0_14default_configEmN2at4cuda3cub6detail10OpaqueTypeILi8EEEEELb1EPKmmNS0_19identity_decomposerEEEvT1_PT2_SG_SG_T3_jj,@function
_ZN7rocprim17ROCPRIM_304000_NS6detail26onesweep_histograms_kernelINS1_34wrapped_radix_sort_onesweep_configINS0_14default_configEmN2at4cuda3cub6detail10OpaqueTypeILi8EEEEELb1EPKmmNS0_19identity_decomposerEEEvT1_PT2_SG_SG_T3_jj: ; @_ZN7rocprim17ROCPRIM_304000_NS6detail26onesweep_histograms_kernelINS1_34wrapped_radix_sort_onesweep_configINS0_14default_configEmN2at4cuda3cub6detail10OpaqueTypeILi8EEEEELb1EPKmmNS0_19identity_decomposerEEEvT1_PT2_SG_SG_T3_jj
; %bb.0:
	s_load_dwordx8 s[12:19], s[0:1], 0x0
	s_load_dwordx2 s[20:21], s[0:1], 0x24
	v_mov_b32_e32 v2, s2
	v_mov_b32_e32 v3, 0
	s_mul_hi_u32 s0, s2, 0xc000
	s_mul_i32 s2, s2, 0xc000
	s_waitcnt lgkmcnt(0)
	v_cmp_le_u64_e32 vcc, s[18:19], v[2:3]
	s_add_u32 s22, s12, s2
	s_addc_u32 s23, s13, s0
	s_mov_b64 s[0:1], -1
	v_lshlrev_b32_e32 v2, 3, v0
	s_cbranch_vccz .LBB10_50
; %bb.1:
	s_mul_i32 s12, s18, 0xffffe800
	s_add_i32 s12, s12, s16
	v_lshl_add_u64 v[16:17], s[22:23], 0, v[2:3]
	v_cmp_gt_u32_e64 s[10:11], s12, v0
                                        ; implicit-def: $vgpr14_vgpr15
	s_and_saveexec_b64 s[0:1], s[10:11]
	s_cbranch_execz .LBB10_3
; %bb.2:
	global_load_dwordx2 v[4:5], v[16:17], off
	s_waitcnt vmcnt(0)
	v_not_b32_e32 v15, v5
	v_not_b32_e32 v14, v4
.LBB10_3:
	s_or_b64 exec, exec, s[0:1]
	v_or_b32_e32 v1, 0x400, v0
	v_cmp_gt_u32_e64 s[8:9], s12, v1
                                        ; implicit-def: $vgpr12_vgpr13
	s_and_saveexec_b64 s[0:1], s[8:9]
	s_cbranch_execz .LBB10_5
; %bb.4:
	v_add_co_u32_e32 v4, vcc, 0x2000, v16
	s_nop 1
	v_addc_co_u32_e32 v5, vcc, 0, v17, vcc
	global_load_dwordx2 v[4:5], v[4:5], off
	s_waitcnt vmcnt(0)
	v_not_b32_e32 v13, v5
	v_not_b32_e32 v12, v4
.LBB10_5:
	s_or_b64 exec, exec, s[0:1]
	v_or_b32_e32 v1, 0x800, v0
	v_cmp_gt_u32_e64 s[6:7], s12, v1
                                        ; implicit-def: $vgpr10_vgpr11
	s_and_saveexec_b64 s[0:1], s[6:7]
	s_cbranch_execz .LBB10_7
; %bb.6:
	v_add_co_u32_e32 v4, vcc, 0x4000, v16
	s_nop 1
	v_addc_co_u32_e32 v5, vcc, 0, v17, vcc
	global_load_dwordx2 v[4:5], v[4:5], off
	s_waitcnt vmcnt(0)
	v_not_b32_e32 v11, v5
	v_not_b32_e32 v10, v4
.LBB10_7:
	s_or_b64 exec, exec, s[0:1]
	v_or_b32_e32 v1, 0xc00, v0
	v_cmp_gt_u32_e64 s[4:5], s12, v1
                                        ; implicit-def: $vgpr8_vgpr9
	s_and_saveexec_b64 s[0:1], s[4:5]
	s_cbranch_execz .LBB10_9
; %bb.8:
	v_add_co_u32_e32 v4, vcc, 0x6000, v16
	s_nop 1
	v_addc_co_u32_e32 v5, vcc, 0, v17, vcc
	global_load_dwordx2 v[4:5], v[4:5], off
	s_waitcnt vmcnt(0)
	v_not_b32_e32 v9, v5
	v_not_b32_e32 v8, v4
.LBB10_9:
	s_or_b64 exec, exec, s[0:1]
	v_or_b32_e32 v1, 0x1000, v0
	v_cmp_gt_u32_e64 s[2:3], s12, v1
                                        ; implicit-def: $vgpr6_vgpr7
	s_and_saveexec_b64 s[0:1], s[2:3]
	s_cbranch_execz .LBB10_11
; %bb.10:
	v_add_co_u32_e32 v4, vcc, 0x8000, v16
	s_nop 1
	v_addc_co_u32_e32 v5, vcc, 0, v17, vcc
	global_load_dwordx2 v[4:5], v[4:5], off
	s_waitcnt vmcnt(0)
	v_not_b32_e32 v7, v5
	v_not_b32_e32 v6, v4
.LBB10_11:
	s_or_b64 exec, exec, s[0:1]
	v_or_b32_e32 v1, 0x1400, v0
	v_cmp_gt_u32_e64 s[0:1], s12, v1
                                        ; implicit-def: $vgpr4_vgpr5
	s_and_saveexec_b64 s[12:13], s[0:1]
	s_cbranch_execz .LBB10_13
; %bb.12:
	v_add_co_u32_e32 v4, vcc, 0xa000, v16
	s_nop 1
	v_addc_co_u32_e32 v5, vcc, 0, v17, vcc
	global_load_dwordx2 v[4:5], v[4:5], off
	s_waitcnt vmcnt(0)
	v_not_b32_e32 v5, v5
	v_not_b32_e32 v4, v4
.LBB10_13:
	s_or_b64 exec, exec, s[12:13]
	v_sub_u32_e32 v1, 0xaff, v0
	v_lshrrev_b32_e32 v16, 10, v1
	v_add_u32_e32 v1, 2, v16
	s_mov_b32 s16, 0
	v_and_b32_e32 v3, 6, v1
	v_mov_b32_e32 v1, v16
	v_lshlrev_b32_e32 v17, 2, v0
	s_mov_b32 s17, 1
	s_mov_b64 s[18:19], 0
	v_mov_b32_e32 v18, 0
	s_mov_b32 s24, s16
	s_branch .LBB10_15
.LBB10_14:                              ;   in Loop: Header=BB10_15 Depth=1
	s_or_b64 exec, exec, s[12:13]
	s_add_i32 s24, s24, 2
	v_cmp_eq_u32_e32 vcc, s24, v3
	s_or_b64 s[18:19], vcc, s[18:19]
	v_add_u32_e32 v17, 0x2000, v17
	s_andn2_b64 exec, exec, s[18:19]
	s_cbranch_execz .LBB10_19
.LBB10_15:                              ; =>This Inner Loop Header: Depth=1
	s_mov_b32 s25, s24
	s_or_b64 s[12:13], s[24:25], s[16:17]
	v_cmp_le_u32_e32 vcc, s13, v1
	v_cmp_le_u32_e64 s[12:13], s12, v16
	s_and_saveexec_b64 s[26:27], s[12:13]
; %bb.16:                               ;   in Loop: Header=BB10_15 Depth=1
	ds_write_b32 v17, v18
; %bb.17:                               ;   in Loop: Header=BB10_15 Depth=1
	s_or_b64 exec, exec, s[26:27]
	s_and_saveexec_b64 s[12:13], vcc
	s_cbranch_execz .LBB10_14
; %bb.18:                               ;   in Loop: Header=BB10_15 Depth=1
	ds_write_b32 v17, v18 offset:4096
	s_branch .LBB10_14
.LBB10_19:
	s_or_b64 exec, exec, s[18:19]
	s_cmp_gt_u32 s21, s20
	s_cselect_b64 s[12:13], -1, 0
	s_cmp_le_u32 s21, s20
	s_waitcnt lgkmcnt(0)
	s_barrier
	s_cbranch_scc1 .LBB10_44
; %bb.20:
	v_and_b32_e32 v1, 3, v0
	v_lshlrev_b32_e32 v1, 2, v1
	s_sub_i32 s18, s21, s20
	v_mov_b32_e32 v3, 1
	s_mov_b32 s19, s18
	v_mov_b32_e32 v16, v1
	s_mov_b32 s24, s20
	s_branch .LBB10_22
.LBB10_21:                              ;   in Loop: Header=BB10_22 Depth=1
	s_or_b64 exec, exec, s[16:17]
	s_add_i32 s24, s24, 6
	s_add_i32 s19, s19, -6
	s_cmp_lt_u32 s24, s21
	v_add_u32_e32 v16, 0x400, v16
	s_cbranch_scc0 .LBB10_24
.LBB10_22:                              ; =>This Inner Loop Header: Depth=1
	s_and_saveexec_b64 s[16:17], s[10:11]
	s_cbranch_execz .LBB10_21
; %bb.23:                               ;   in Loop: Header=BB10_22 Depth=1
	s_min_u32 s25, s19, 6
	v_lshrrev_b64 v[18:19], s24, v[14:15]
	v_bfe_u32 v17, v18, 0, s25
	v_lshl_add_u32 v17, v17, 4, v16
	ds_add_u32 v17, v3
	s_branch .LBB10_21
.LBB10_24:
	v_mov_b32_e32 v3, 1
	s_mov_b32 s16, s18
	v_mov_b32_e32 v14, v1
	s_mov_b32 s17, s20
	s_branch .LBB10_26
.LBB10_25:                              ;   in Loop: Header=BB10_26 Depth=1
	s_or_b64 exec, exec, s[10:11]
	s_add_i32 s17, s17, 6
	s_add_i32 s16, s16, -6
	s_cmp_lt_u32 s17, s21
	v_add_u32_e32 v14, 0x400, v14
	s_cbranch_scc0 .LBB10_28
.LBB10_26:                              ; =>This Inner Loop Header: Depth=1
	s_and_saveexec_b64 s[10:11], s[8:9]
	s_cbranch_execz .LBB10_25
; %bb.27:                               ;   in Loop: Header=BB10_26 Depth=1
	s_min_u32 s19, s16, 6
	v_lshrrev_b64 v[16:17], s17, v[12:13]
	v_bfe_u32 v15, v16, 0, s19
	v_lshl_add_u32 v15, v15, 4, v14
	ds_add_u32 v15, v3
	s_branch .LBB10_25
.LBB10_28:
	;; [unrolled: 23-line block ×5, first 2 shown]
	v_mov_b32_e32 v3, 1
	s_mov_b32 s4, s20
	s_branch .LBB10_42
.LBB10_41:                              ;   in Loop: Header=BB10_42 Depth=1
	s_or_b64 exec, exec, s[2:3]
	s_add_i32 s4, s4, 6
	s_add_i32 s18, s18, -6
	s_cmp_lt_u32 s4, s21
	v_add_u32_e32 v1, 0x400, v1
	s_cbranch_scc0 .LBB10_44
.LBB10_42:                              ; =>This Inner Loop Header: Depth=1
	s_and_saveexec_b64 s[2:3], s[0:1]
	s_cbranch_execz .LBB10_41
; %bb.43:                               ;   in Loop: Header=BB10_42 Depth=1
	s_min_u32 s5, s18, 6
	v_lshrrev_b64 v[6:7], s4, v[4:5]
	v_bfe_u32 v6, v6, 0, s5
	v_lshl_add_u32 v6, v6, 4, v1
	ds_add_u32 v6, v3
	s_branch .LBB10_41
.LBB10_44:
	s_and_b64 vcc, exec, s[12:13]
	s_waitcnt lgkmcnt(0)
	s_barrier
	s_cbranch_vccz .LBB10_49
; %bb.45:
	v_cmp_gt_u32_e32 vcc, 64, v0
	v_lshlrev_b32_e32 v1, 4, v0
	v_mov_b32_e32 v5, 0
	v_mov_b32_e32 v4, v0
	s_mov_b32 s2, s20
	s_branch .LBB10_47
.LBB10_46:                              ;   in Loop: Header=BB10_47 Depth=1
	s_or_b64 exec, exec, s[0:1]
	s_add_i32 s2, s2, 6
	v_add_u32_e32 v4, 64, v4
	s_cmp_lt_u32 s2, s21
	v_add_u32_e32 v1, 0x400, v1
	s_cbranch_scc0 .LBB10_49
.LBB10_47:                              ; =>This Inner Loop Header: Depth=1
	s_and_saveexec_b64 s[0:1], vcc
	s_cbranch_execz .LBB10_46
; %bb.48:                               ;   in Loop: Header=BB10_47 Depth=1
	ds_read2_b32 v[6:7], v1 offset1:1
	ds_read2_b32 v[8:9], v1 offset0:2 offset1:3
	v_lshl_add_u64 v[10:11], v[4:5], 3, s[14:15]
	s_waitcnt lgkmcnt(1)
	v_add_u32_e32 v3, v7, v6
	s_waitcnt lgkmcnt(0)
	v_add3_u32 v6, v3, v8, v9
	v_mov_b32_e32 v7, v5
	global_atomic_add_x2 v[10:11], v[6:7], off
	s_branch .LBB10_46
.LBB10_49:
	s_mov_b64 s[0:1], 0
.LBB10_50:
	s_and_b64 vcc, exec, s[0:1]
	s_cbranch_vccz .LBB10_86
; %bb.51:
	v_mov_b32_e32 v3, 0
	v_lshl_add_u64 v[12:13], s[22:23], 0, v[2:3]
	v_add_co_u32_e32 v14, vcc, 0x2000, v12
	s_cmp_eq_u32 s20, 0
	s_nop 0
	v_addc_co_u32_e32 v15, vcc, 0, v13, vcc
	v_add_co_u32_e32 v16, vcc, 0x4000, v12
	s_cselect_b64 s[0:1], -1, 0
	s_nop 0
	v_addc_co_u32_e32 v17, vcc, 0, v13, vcc
	v_add_co_u32_e32 v18, vcc, 0x6000, v12
	s_cmp_eq_u32 s21, 64
	s_nop 0
	v_addc_co_u32_e32 v19, vcc, 0, v13, vcc
	v_add_co_u32_e32 v20, vcc, 0x8000, v12
	v_sub_u32_e32 v1, 0xaff, v0
	s_nop 0
	v_addc_co_u32_e32 v21, vcc, 0, v13, vcc
	global_load_dwordx2 v[10:11], v[14:15], off
	global_load_dwordx2 v[6:7], v[16:17], off
	;; [unrolled: 1-line block ×4, first 2 shown]
	v_add_co_u32_e32 v16, vcc, 0xa000, v12
	s_cselect_b64 s[4:5], -1, 0
	s_nop 0
	v_addc_co_u32_e32 v17, vcc, 0, v13, vcc
	global_load_dwordx2 v[14:15], v2, s[22:23]
	global_load_dwordx2 v[12:13], v[16:17], off
	v_lshrrev_b32_e32 v1, 10, v1
	s_and_b64 s[4:5], s[0:1], s[4:5]
	v_add_u32_e32 v16, 2, v1
	s_mov_b32 s2, 0
	v_and_b32_e32 v18, 6, v16
	s_mov_b64 s[0:1], -1
	s_and_b64 vcc, exec, s[4:5]
	v_lshlrev_b32_e32 v19, 2, v0
	s_cbranch_vccnz .LBB10_77
; %bb.52:
	v_lshlrev_b32_e32 v16, 2, v0
	s_mov_b64 s[4:5], 0
	s_mov_b32 s3, 1
	s_mov_b32 s6, s2
	s_branch .LBB10_54
.LBB10_53:                              ;   in Loop: Header=BB10_54 Depth=1
	s_or_b64 exec, exec, s[0:1]
	s_add_i32 s6, s6, 2
	v_cmp_eq_u32_e32 vcc, s6, v18
	s_or_b64 s[4:5], vcc, s[4:5]
	v_add_u32_e32 v16, 0x2000, v16
	s_andn2_b64 exec, exec, s[4:5]
	s_cbranch_execz .LBB10_58
.LBB10_54:                              ; =>This Inner Loop Header: Depth=1
	s_mov_b32 s7, s6
	s_or_b64 s[0:1], s[6:7], s[2:3]
	v_cmp_le_u32_e32 vcc, s1, v1
	v_cmp_le_u32_e64 s[0:1], s0, v1
	s_and_saveexec_b64 s[8:9], s[0:1]
; %bb.55:                               ;   in Loop: Header=BB10_54 Depth=1
	ds_write_b32 v16, v3
; %bb.56:                               ;   in Loop: Header=BB10_54 Depth=1
	s_or_b64 exec, exec, s[8:9]
	s_and_saveexec_b64 s[0:1], vcc
	s_cbranch_execz .LBB10_53
; %bb.57:                               ;   in Loop: Header=BB10_54 Depth=1
	ds_write_b32 v16, v3 offset:4096
	s_branch .LBB10_53
.LBB10_58:
	s_or_b64 exec, exec, s[4:5]
	s_cmp_gt_u32 s21, s20
	s_cselect_b64 s[0:1], -1, 0
	s_cmp_le_u32 s21, s20
	s_waitcnt lgkmcnt(0)
	s_barrier
	s_cbranch_scc1 .LBB10_71
; %bb.59:
	v_and_b32_e32 v3, 3, v0
	v_lshlrev_b32_e32 v3, 2, v3
	s_sub_i32 s2, s21, s20
	s_waitcnt vmcnt(1)
	v_not_b32_e32 v17, v15
	v_not_b32_e32 v16, v14
	v_mov_b32_e32 v20, 1
	s_mov_b32 s3, s2
	v_mov_b32_e32 v21, v3
	s_mov_b32 s4, s20
.LBB10_60:                              ; =>This Inner Loop Header: Depth=1
	s_min_u32 s5, s3, 6
	v_lshrrev_b64 v[22:23], s4, v[16:17]
	v_bfe_u32 v22, v22, 0, s5
	v_lshl_add_u32 v22, v22, 4, v21
	ds_add_u32 v22, v20
	s_add_i32 s4, s4, 6
	s_add_i32 s3, s3, -6
	s_cmp_lt_u32 s4, s21
	v_add_u32_e32 v21, 0x400, v21
	s_cbranch_scc1 .LBB10_60
; %bb.61:
	v_not_b32_e32 v17, v11
	v_not_b32_e32 v16, v10
	v_mov_b32_e32 v20, 1
	s_mov_b32 s3, s2
	v_mov_b32_e32 v21, v3
	s_mov_b32 s4, s20
.LBB10_62:                              ; =>This Inner Loop Header: Depth=1
	s_min_u32 s5, s3, 6
	v_lshrrev_b64 v[22:23], s4, v[16:17]
	v_bfe_u32 v22, v22, 0, s5
	v_lshl_add_u32 v22, v22, 4, v21
	ds_add_u32 v22, v20
	s_add_i32 s4, s4, 6
	s_add_i32 s3, s3, -6
	s_cmp_lt_u32 s4, s21
	v_add_u32_e32 v21, 0x400, v21
	s_cbranch_scc1 .LBB10_62
; %bb.63:
	;; [unrolled: 18-line block ×5, first 2 shown]
	s_waitcnt vmcnt(0)
	v_not_b32_e32 v17, v13
	v_not_b32_e32 v16, v12
	v_mov_b32_e32 v20, 1
	s_mov_b32 s3, s20
.LBB10_70:                              ; =>This Inner Loop Header: Depth=1
	s_min_u32 s4, s2, 6
	v_lshrrev_b64 v[22:23], s3, v[16:17]
	v_bfe_u32 v21, v22, 0, s4
	v_lshl_add_u32 v21, v21, 4, v3
	ds_add_u32 v21, v20
	s_add_i32 s3, s3, 6
	s_add_i32 s2, s2, -6
	s_cmp_lt_u32 s3, s21
	v_add_u32_e32 v3, 0x400, v3
	s_cbranch_scc1 .LBB10_70
.LBB10_71:
	s_and_b64 vcc, exec, s[0:1]
	s_waitcnt lgkmcnt(0)
	s_barrier
	s_cbranch_vccz .LBB10_76
; %bb.72:
	v_cmp_gt_u32_e32 vcc, 64, v0
	v_lshlrev_b32_e32 v3, 4, v0
	v_mov_b32_e32 v17, 0
	v_mov_b32_e32 v16, v0
	s_branch .LBB10_74
.LBB10_73:                              ;   in Loop: Header=BB10_74 Depth=1
	s_or_b64 exec, exec, s[0:1]
	s_add_i32 s20, s20, 6
	v_add_u32_e32 v16, 64, v16
	s_cmp_ge_u32 s20, s21
	v_add_u32_e32 v3, 0x400, v3
	s_cbranch_scc1 .LBB10_76
.LBB10_74:                              ; =>This Inner Loop Header: Depth=1
	s_and_saveexec_b64 s[0:1], vcc
	s_cbranch_execz .LBB10_73
; %bb.75:                               ;   in Loop: Header=BB10_74 Depth=1
	ds_read2_b32 v[20:21], v3 offset1:1
	ds_read2_b32 v[22:23], v3 offset0:2 offset1:3
	v_lshl_add_u64 v[24:25], v[16:17], 3, s[14:15]
	s_waitcnt lgkmcnt(1)
	v_add_u32_e32 v20, v21, v20
	s_waitcnt lgkmcnt(0)
	v_add3_u32 v20, v20, v22, v23
	v_mov_b32_e32 v21, v17
	global_atomic_add_x2 v[24:25], v[20:21], off
	s_branch .LBB10_73
.LBB10_76:
	s_mov_b64 s[0:1], 0
.LBB10_77:
	s_and_b64 vcc, exec, s[0:1]
	s_cbranch_vccz .LBB10_86
; %bb.78:
	s_mov_b32 s2, 0
	s_mov_b32 s3, 1
	s_mov_b64 s[4:5], 0
	v_mov_b32_e32 v3, 0
	s_mov_b32 s6, s2
	s_branch .LBB10_80
.LBB10_79:                              ;   in Loop: Header=BB10_80 Depth=1
	s_or_b64 exec, exec, s[0:1]
	s_add_i32 s6, s6, 2
	v_cmp_eq_u32_e32 vcc, s6, v18
	s_or_b64 s[4:5], vcc, s[4:5]
	v_add_u32_e32 v19, 0x2000, v19
	s_andn2_b64 exec, exec, s[4:5]
	s_cbranch_execz .LBB10_84
.LBB10_80:                              ; =>This Inner Loop Header: Depth=1
	s_mov_b32 s7, s6
	s_or_b64 s[0:1], s[6:7], s[2:3]
	v_cmp_le_u32_e32 vcc, s1, v1
	v_cmp_le_u32_e64 s[0:1], s0, v1
	s_and_saveexec_b64 s[8:9], s[0:1]
; %bb.81:                               ;   in Loop: Header=BB10_80 Depth=1
	ds_write_b32 v19, v3
; %bb.82:                               ;   in Loop: Header=BB10_80 Depth=1
	s_or_b64 exec, exec, s[8:9]
	s_and_saveexec_b64 s[0:1], vcc
	s_cbranch_execz .LBB10_79
; %bb.83:                               ;   in Loop: Header=BB10_80 Depth=1
	ds_write_b32 v19, v3 offset:4096
	s_branch .LBB10_79
.LBB10_84:
	s_or_b64 exec, exec, s[4:5]
	s_waitcnt vmcnt(1)
	v_not_b32_e32 v3, v14
	v_and_b32_e32 v14, 3, v0
	v_not_b32_e32 v1, v15
	v_lshlrev_b32_e32 v15, 4, v3
	v_lshlrev_b32_e32 v14, 2, v14
	s_movk_i32 s0, 0x3f0
	v_and_or_b32 v15, v15, s0, v14
	v_mov_b32_e32 v16, 1
	s_waitcnt lgkmcnt(0)
	s_barrier
	ds_add_u32 v15, v16
	v_lshrrev_b32_e32 v15, 2, v3
	v_and_or_b32 v15, v15, s0, v14
	ds_add_u32 v15, v16 offset:1024
	v_lshrrev_b32_e32 v15, 8, v3
	v_and_or_b32 v15, v15, s0, v14
	ds_add_u32 v15, v16 offset:2048
	;; [unrolled: 3-line block ×3, first 2 shown]
	v_lshrrev_b32_e32 v15, 20, v3
	v_and_or_b32 v15, v15, s0, v14
	v_alignbit_b32 v3, v1, v3, 26
	ds_add_u32 v15, v16 offset:4096
	v_and_or_b32 v3, v3, s0, v14
	ds_add_u32 v3, v16 offset:5120
	v_and_or_b32 v3, v1, s0, v14
	ds_add_u32 v3, v16 offset:6144
	v_lshrrev_b32_e32 v3, 6, v1
	v_and_or_b32 v3, v3, s0, v14
	ds_add_u32 v3, v16 offset:7168
	v_lshrrev_b32_e32 v3, 12, v1
	;; [unrolled: 3-line block ×3, first 2 shown]
	v_and_or_b32 v3, v3, s0, v14
	v_lshrrev_b32_e32 v1, 24, v1
	s_movk_i32 s1, 0xf0
	v_not_b32_e32 v10, v10
	ds_add_u32 v3, v16 offset:9216
	v_and_or_b32 v1, v1, s1, v14
	ds_add_u32 v1, v16 offset:10240
	v_lshlrev_b32_e32 v1, 4, v10
	v_and_or_b32 v1, v1, s0, v14
	ds_add_u32 v1, v16
	v_lshrrev_b32_e32 v1, 2, v10
	v_and_or_b32 v1, v1, s0, v14
	ds_add_u32 v1, v16 offset:1024
	v_lshrrev_b32_e32 v1, 8, v10
	v_and_or_b32 v1, v1, s0, v14
	ds_add_u32 v1, v16 offset:2048
	v_lshrrev_b32_e32 v1, 14, v10
	v_and_or_b32 v1, v1, s0, v14
	ds_add_u32 v1, v16 offset:3072
	v_lshrrev_b32_e32 v1, 20, v10
	v_not_b32_e32 v11, v11
	v_and_or_b32 v1, v1, s0, v14
	ds_add_u32 v1, v16 offset:4096
	v_alignbit_b32 v1, v11, v10, 26
	v_and_or_b32 v1, v1, s0, v14
	ds_add_u32 v1, v16 offset:5120
	v_and_or_b32 v1, v11, s0, v14
	ds_add_u32 v1, v16 offset:6144
	v_lshrrev_b32_e32 v1, 6, v11
	v_and_or_b32 v1, v1, s0, v14
	ds_add_u32 v1, v16 offset:7168
	v_lshrrev_b32_e32 v1, 12, v11
	v_and_or_b32 v1, v1, s0, v14
	ds_add_u32 v1, v16 offset:8192
	v_lshrrev_b32_e32 v1, 18, v11
	v_and_or_b32 v1, v1, s0, v14
	ds_add_u32 v1, v16 offset:9216
	v_lshrrev_b32_e32 v1, 24, v11
	v_not_b32_e32 v6, v6
	v_and_or_b32 v1, v1, s1, v14
	ds_add_u32 v1, v16 offset:10240
	v_lshlrev_b32_e32 v1, 4, v6
	v_and_or_b32 v1, v1, s0, v14
	ds_add_u32 v1, v16
	v_lshrrev_b32_e32 v1, 2, v6
	v_and_or_b32 v1, v1, s0, v14
	ds_add_u32 v1, v16 offset:1024
	v_lshrrev_b32_e32 v1, 8, v6
	v_and_or_b32 v1, v1, s0, v14
	ds_add_u32 v1, v16 offset:2048
	v_lshrrev_b32_e32 v1, 14, v6
	v_and_or_b32 v1, v1, s0, v14
	ds_add_u32 v1, v16 offset:3072
	v_lshrrev_b32_e32 v1, 20, v6
	v_not_b32_e32 v7, v7
	v_and_or_b32 v1, v1, s0, v14
	ds_add_u32 v1, v16 offset:4096
	v_alignbit_b32 v1, v7, v6, 26
	v_and_or_b32 v1, v1, s0, v14
	ds_add_u32 v1, v16 offset:5120
	v_and_or_b32 v1, v7, s0, v14
	ds_add_u32 v1, v16 offset:6144
	v_lshrrev_b32_e32 v1, 6, v7
	v_and_or_b32 v1, v1, s0, v14
	ds_add_u32 v1, v16 offset:7168
	v_lshrrev_b32_e32 v1, 12, v7
	v_and_or_b32 v1, v1, s0, v14
	ds_add_u32 v1, v16 offset:8192
	v_lshrrev_b32_e32 v1, 18, v7
	v_and_or_b32 v1, v1, s0, v14
	ds_add_u32 v1, v16 offset:9216
	v_lshrrev_b32_e32 v1, 24, v7
	v_not_b32_e32 v4, v4
	;; [unrolled: 34-line block ×3, first 2 shown]
	v_and_or_b32 v1, v1, s1, v14
	ds_add_u32 v1, v16 offset:10240
	v_lshlrev_b32_e32 v1, 4, v8
	v_and_or_b32 v1, v1, s0, v14
	ds_add_u32 v1, v16
	v_lshrrev_b32_e32 v1, 2, v8
	v_and_or_b32 v1, v1, s0, v14
	ds_add_u32 v1, v16 offset:1024
	v_lshrrev_b32_e32 v1, 8, v8
	v_and_or_b32 v1, v1, s0, v14
	ds_add_u32 v1, v16 offset:2048
	;; [unrolled: 3-line block ×3, first 2 shown]
	v_lshrrev_b32_e32 v1, 20, v8
	v_not_b32_e32 v9, v9
	v_and_or_b32 v1, v1, s0, v14
	ds_add_u32 v1, v16 offset:4096
	v_alignbit_b32 v1, v9, v8, 26
	v_and_or_b32 v1, v1, s0, v14
	ds_add_u32 v1, v16 offset:5120
	v_and_or_b32 v1, v9, s0, v14
	ds_add_u32 v1, v16 offset:6144
	v_lshrrev_b32_e32 v1, 6, v9
	v_and_or_b32 v1, v1, s0, v14
	ds_add_u32 v1, v16 offset:7168
	v_lshrrev_b32_e32 v1, 12, v9
	;; [unrolled: 3-line block ×4, first 2 shown]
	s_waitcnt vmcnt(0)
	v_not_b32_e32 v12, v12
	v_and_or_b32 v1, v1, s1, v14
	ds_add_u32 v1, v16 offset:10240
	v_lshlrev_b32_e32 v1, 4, v12
	v_and_or_b32 v1, v1, s0, v14
	ds_add_u32 v1, v16
	v_lshrrev_b32_e32 v1, 2, v12
	v_and_or_b32 v1, v1, s0, v14
	ds_add_u32 v1, v16 offset:1024
	v_lshrrev_b32_e32 v1, 8, v12
	v_and_or_b32 v1, v1, s0, v14
	ds_add_u32 v1, v16 offset:2048
	;; [unrolled: 3-line block ×3, first 2 shown]
	v_lshrrev_b32_e32 v1, 20, v12
	v_not_b32_e32 v13, v13
	v_and_or_b32 v1, v1, s0, v14
	ds_add_u32 v1, v16 offset:4096
	v_alignbit_b32 v1, v13, v12, 26
	v_and_or_b32 v1, v1, s0, v14
	ds_add_u32 v1, v16 offset:5120
	v_and_or_b32 v1, v13, s0, v14
	ds_add_u32 v1, v16 offset:6144
	v_lshrrev_b32_e32 v1, 6, v13
	v_and_or_b32 v1, v1, s0, v14
	ds_add_u32 v1, v16 offset:7168
	v_lshrrev_b32_e32 v1, 12, v13
	;; [unrolled: 3-line block ×4, first 2 shown]
	v_and_or_b32 v1, v1, s1, v14
	ds_add_u32 v1, v16 offset:10240
	v_cmp_gt_u32_e32 vcc, 64, v0
	s_waitcnt lgkmcnt(0)
	s_barrier
	s_and_saveexec_b64 s[0:1], vcc
	s_cbranch_execz .LBB10_86
; %bb.85:
	v_lshlrev_b32_e32 v8, 4, v0
	ds_read2_b32 v[0:1], v8 offset1:1
	ds_read2_b32 v[4:5], v8 offset0:2 offset1:3
	v_mov_b32_e32 v3, 0
	v_mov_b32_e32 v7, v3
	v_add_u32_e32 v9, 0x400, v8
	s_waitcnt lgkmcnt(1)
	v_add_u32_e32 v0, v1, v0
	s_waitcnt lgkmcnt(0)
	v_add3_u32 v6, v0, v4, v5
	global_atomic_add_x2 v2, v[6:7], s[14:15]
	v_add_u32_e32 v4, 0x408, v8
	ds_read2_b32 v[0:1], v9 offset1:1
	ds_read2_b32 v[4:5], v4 offset1:1
	v_add_u32_e32 v9, 0x800, v8
	s_movk_i32 s0, 0x1000
	s_waitcnt lgkmcnt(1)
	v_add_u32_e32 v0, v1, v0
	s_waitcnt lgkmcnt(0)
	v_add3_u32 v6, v0, v4, v5
	global_atomic_add_x2 v2, v[6:7], s[14:15] offset:512
	v_add_u32_e32 v4, 0x808, v8
	ds_read2_b32 v[0:1], v9 offset1:1
	ds_read2_b32 v[4:5], v4 offset1:1
	v_add_u32_e32 v9, 0xc00, v8
	s_waitcnt lgkmcnt(1)
	v_add_u32_e32 v0, v1, v0
	s_waitcnt lgkmcnt(0)
	v_add3_u32 v6, v0, v4, v5
	global_atomic_add_x2 v2, v[6:7], s[14:15] offset:1024
	v_add_u32_e32 v4, 0xc08, v8
	ds_read2_b32 v[0:1], v9 offset1:1
	ds_read2_b32 v[4:5], v4 offset1:1
	v_add_u32_e32 v9, 0x1000, v8
	;; [unrolled: 9-line block ×6, first 2 shown]
	s_waitcnt lgkmcnt(1)
	v_add_u32_e32 v0, v1, v0
	s_waitcnt lgkmcnt(0)
	v_add3_u32 v6, v0, v4, v5
	global_atomic_add_x2 v2, v[6:7], s[14:15] offset:3584
	v_add_u32_e32 v4, 0x2008, v8
	ds_read2_b32 v[0:1], v9 offset1:1
	ds_read2_b32 v[4:5], v4 offset1:1
	v_lshl_add_u64 v[6:7], s[14:15], 0, v[2:3]
	s_waitcnt lgkmcnt(1)
	v_add_u32_e32 v0, v1, v0
	s_waitcnt lgkmcnt(0)
	v_add3_u32 v2, v0, v4, v5
	v_add_co_u32_e32 v0, vcc, s0, v6
	v_add_u32_e32 v6, 0x2408, v8
	s_nop 0
	v_addc_co_u32_e32 v1, vcc, 0, v7, vcc
	global_atomic_add_x2 v[0:1], v[2:3], off
	v_add_u32_e32 v2, 0x2400, v8
	ds_read2_b32 v[4:5], v2 offset1:1
	ds_read2_b32 v[6:7], v6 offset1:1
	s_waitcnt lgkmcnt(1)
	v_add_u32_e32 v2, v5, v4
	s_waitcnt lgkmcnt(0)
	v_add3_u32 v2, v2, v6, v7
	global_atomic_add_x2 v[0:1], v[2:3], off offset:512
	v_add_u32_e32 v2, 0x2800, v8
	v_add_u32_e32 v6, 0x2808, v8
	ds_read2_b32 v[4:5], v2 offset1:1
	ds_read2_b32 v[6:7], v6 offset1:1
	s_waitcnt lgkmcnt(1)
	v_add_u32_e32 v2, v5, v4
	s_waitcnt lgkmcnt(0)
	v_add3_u32 v2, v2, v6, v7
	global_atomic_add_x2 v[0:1], v[2:3], off offset:1024
.LBB10_86:
	s_endpgm
	.section	.rodata,"a",@progbits
	.p2align	6, 0x0
	.amdhsa_kernel _ZN7rocprim17ROCPRIM_304000_NS6detail26onesweep_histograms_kernelINS1_34wrapped_radix_sort_onesweep_configINS0_14default_configEmN2at4cuda3cub6detail10OpaqueTypeILi8EEEEELb1EPKmmNS0_19identity_decomposerEEEvT1_PT2_SG_SG_T3_jj
		.amdhsa_group_segment_fixed_size 11264
		.amdhsa_private_segment_fixed_size 0
		.amdhsa_kernarg_size 44
		.amdhsa_user_sgpr_count 2
		.amdhsa_user_sgpr_dispatch_ptr 0
		.amdhsa_user_sgpr_queue_ptr 0
		.amdhsa_user_sgpr_kernarg_segment_ptr 1
		.amdhsa_user_sgpr_dispatch_id 0
		.amdhsa_user_sgpr_kernarg_preload_length 0
		.amdhsa_user_sgpr_kernarg_preload_offset 0
		.amdhsa_user_sgpr_private_segment_size 0
		.amdhsa_uses_dynamic_stack 0
		.amdhsa_enable_private_segment 0
		.amdhsa_system_sgpr_workgroup_id_x 1
		.amdhsa_system_sgpr_workgroup_id_y 0
		.amdhsa_system_sgpr_workgroup_id_z 0
		.amdhsa_system_sgpr_workgroup_info 0
		.amdhsa_system_vgpr_workitem_id 0
		.amdhsa_next_free_vgpr 26
		.amdhsa_next_free_sgpr 28
		.amdhsa_accum_offset 28
		.amdhsa_reserve_vcc 1
		.amdhsa_float_round_mode_32 0
		.amdhsa_float_round_mode_16_64 0
		.amdhsa_float_denorm_mode_32 3
		.amdhsa_float_denorm_mode_16_64 3
		.amdhsa_dx10_clamp 1
		.amdhsa_ieee_mode 1
		.amdhsa_fp16_overflow 0
		.amdhsa_tg_split 0
		.amdhsa_exception_fp_ieee_invalid_op 0
		.amdhsa_exception_fp_denorm_src 0
		.amdhsa_exception_fp_ieee_div_zero 0
		.amdhsa_exception_fp_ieee_overflow 0
		.amdhsa_exception_fp_ieee_underflow 0
		.amdhsa_exception_fp_ieee_inexact 0
		.amdhsa_exception_int_div_zero 0
	.end_amdhsa_kernel
	.section	.text._ZN7rocprim17ROCPRIM_304000_NS6detail26onesweep_histograms_kernelINS1_34wrapped_radix_sort_onesweep_configINS0_14default_configEmN2at4cuda3cub6detail10OpaqueTypeILi8EEEEELb1EPKmmNS0_19identity_decomposerEEEvT1_PT2_SG_SG_T3_jj,"axG",@progbits,_ZN7rocprim17ROCPRIM_304000_NS6detail26onesweep_histograms_kernelINS1_34wrapped_radix_sort_onesweep_configINS0_14default_configEmN2at4cuda3cub6detail10OpaqueTypeILi8EEEEELb1EPKmmNS0_19identity_decomposerEEEvT1_PT2_SG_SG_T3_jj,comdat
.Lfunc_end10:
	.size	_ZN7rocprim17ROCPRIM_304000_NS6detail26onesweep_histograms_kernelINS1_34wrapped_radix_sort_onesweep_configINS0_14default_configEmN2at4cuda3cub6detail10OpaqueTypeILi8EEEEELb1EPKmmNS0_19identity_decomposerEEEvT1_PT2_SG_SG_T3_jj, .Lfunc_end10-_ZN7rocprim17ROCPRIM_304000_NS6detail26onesweep_histograms_kernelINS1_34wrapped_radix_sort_onesweep_configINS0_14default_configEmN2at4cuda3cub6detail10OpaqueTypeILi8EEEEELb1EPKmmNS0_19identity_decomposerEEEvT1_PT2_SG_SG_T3_jj
                                        ; -- End function
	.set _ZN7rocprim17ROCPRIM_304000_NS6detail26onesweep_histograms_kernelINS1_34wrapped_radix_sort_onesweep_configINS0_14default_configEmN2at4cuda3cub6detail10OpaqueTypeILi8EEEEELb1EPKmmNS0_19identity_decomposerEEEvT1_PT2_SG_SG_T3_jj.num_vgpr, 26
	.set _ZN7rocprim17ROCPRIM_304000_NS6detail26onesweep_histograms_kernelINS1_34wrapped_radix_sort_onesweep_configINS0_14default_configEmN2at4cuda3cub6detail10OpaqueTypeILi8EEEEELb1EPKmmNS0_19identity_decomposerEEEvT1_PT2_SG_SG_T3_jj.num_agpr, 0
	.set _ZN7rocprim17ROCPRIM_304000_NS6detail26onesweep_histograms_kernelINS1_34wrapped_radix_sort_onesweep_configINS0_14default_configEmN2at4cuda3cub6detail10OpaqueTypeILi8EEEEELb1EPKmmNS0_19identity_decomposerEEEvT1_PT2_SG_SG_T3_jj.numbered_sgpr, 28
	.set _ZN7rocprim17ROCPRIM_304000_NS6detail26onesweep_histograms_kernelINS1_34wrapped_radix_sort_onesweep_configINS0_14default_configEmN2at4cuda3cub6detail10OpaqueTypeILi8EEEEELb1EPKmmNS0_19identity_decomposerEEEvT1_PT2_SG_SG_T3_jj.num_named_barrier, 0
	.set _ZN7rocprim17ROCPRIM_304000_NS6detail26onesweep_histograms_kernelINS1_34wrapped_radix_sort_onesweep_configINS0_14default_configEmN2at4cuda3cub6detail10OpaqueTypeILi8EEEEELb1EPKmmNS0_19identity_decomposerEEEvT1_PT2_SG_SG_T3_jj.private_seg_size, 0
	.set _ZN7rocprim17ROCPRIM_304000_NS6detail26onesweep_histograms_kernelINS1_34wrapped_radix_sort_onesweep_configINS0_14default_configEmN2at4cuda3cub6detail10OpaqueTypeILi8EEEEELb1EPKmmNS0_19identity_decomposerEEEvT1_PT2_SG_SG_T3_jj.uses_vcc, 1
	.set _ZN7rocprim17ROCPRIM_304000_NS6detail26onesweep_histograms_kernelINS1_34wrapped_radix_sort_onesweep_configINS0_14default_configEmN2at4cuda3cub6detail10OpaqueTypeILi8EEEEELb1EPKmmNS0_19identity_decomposerEEEvT1_PT2_SG_SG_T3_jj.uses_flat_scratch, 0
	.set _ZN7rocprim17ROCPRIM_304000_NS6detail26onesweep_histograms_kernelINS1_34wrapped_radix_sort_onesweep_configINS0_14default_configEmN2at4cuda3cub6detail10OpaqueTypeILi8EEEEELb1EPKmmNS0_19identity_decomposerEEEvT1_PT2_SG_SG_T3_jj.has_dyn_sized_stack, 0
	.set _ZN7rocprim17ROCPRIM_304000_NS6detail26onesweep_histograms_kernelINS1_34wrapped_radix_sort_onesweep_configINS0_14default_configEmN2at4cuda3cub6detail10OpaqueTypeILi8EEEEELb1EPKmmNS0_19identity_decomposerEEEvT1_PT2_SG_SG_T3_jj.has_recursion, 0
	.set _ZN7rocprim17ROCPRIM_304000_NS6detail26onesweep_histograms_kernelINS1_34wrapped_radix_sort_onesweep_configINS0_14default_configEmN2at4cuda3cub6detail10OpaqueTypeILi8EEEEELb1EPKmmNS0_19identity_decomposerEEEvT1_PT2_SG_SG_T3_jj.has_indirect_call, 0
	.section	.AMDGPU.csdata,"",@progbits
; Kernel info:
; codeLenInByte = 4564
; TotalNumSgprs: 34
; NumVgprs: 26
; NumAgprs: 0
; TotalNumVgprs: 26
; ScratchSize: 0
; MemoryBound: 1
; FloatMode: 240
; IeeeMode: 1
; LDSByteSize: 11264 bytes/workgroup (compile time only)
; SGPRBlocks: 4
; VGPRBlocks: 3
; NumSGPRsForWavesPerEU: 34
; NumVGPRsForWavesPerEU: 26
; AccumOffset: 28
; Occupancy: 8
; WaveLimiterHint : 1
; COMPUTE_PGM_RSRC2:SCRATCH_EN: 0
; COMPUTE_PGM_RSRC2:USER_SGPR: 2
; COMPUTE_PGM_RSRC2:TRAP_HANDLER: 0
; COMPUTE_PGM_RSRC2:TGID_X_EN: 1
; COMPUTE_PGM_RSRC2:TGID_Y_EN: 0
; COMPUTE_PGM_RSRC2:TGID_Z_EN: 0
; COMPUTE_PGM_RSRC2:TIDIG_COMP_CNT: 0
; COMPUTE_PGM_RSRC3_GFX90A:ACCUM_OFFSET: 6
; COMPUTE_PGM_RSRC3_GFX90A:TG_SPLIT: 0
	.section	.text._ZN7rocprim17ROCPRIM_304000_NS6detail31onesweep_scan_histograms_kernelINS1_34wrapped_radix_sort_onesweep_configINS0_14default_configEmN2at4cuda3cub6detail10OpaqueTypeILi8EEEEEmEEvPT0_,"axG",@progbits,_ZN7rocprim17ROCPRIM_304000_NS6detail31onesweep_scan_histograms_kernelINS1_34wrapped_radix_sort_onesweep_configINS0_14default_configEmN2at4cuda3cub6detail10OpaqueTypeILi8EEEEEmEEvPT0_,comdat
	.protected	_ZN7rocprim17ROCPRIM_304000_NS6detail31onesweep_scan_histograms_kernelINS1_34wrapped_radix_sort_onesweep_configINS0_14default_configEmN2at4cuda3cub6detail10OpaqueTypeILi8EEEEEmEEvPT0_ ; -- Begin function _ZN7rocprim17ROCPRIM_304000_NS6detail31onesweep_scan_histograms_kernelINS1_34wrapped_radix_sort_onesweep_configINS0_14default_configEmN2at4cuda3cub6detail10OpaqueTypeILi8EEEEEmEEvPT0_
	.globl	_ZN7rocprim17ROCPRIM_304000_NS6detail31onesweep_scan_histograms_kernelINS1_34wrapped_radix_sort_onesweep_configINS0_14default_configEmN2at4cuda3cub6detail10OpaqueTypeILi8EEEEEmEEvPT0_
	.p2align	8
	.type	_ZN7rocprim17ROCPRIM_304000_NS6detail31onesweep_scan_histograms_kernelINS1_34wrapped_radix_sort_onesweep_configINS0_14default_configEmN2at4cuda3cub6detail10OpaqueTypeILi8EEEEEmEEvPT0_,@function
_ZN7rocprim17ROCPRIM_304000_NS6detail31onesweep_scan_histograms_kernelINS1_34wrapped_radix_sort_onesweep_configINS0_14default_configEmN2at4cuda3cub6detail10OpaqueTypeILi8EEEEEmEEvPT0_: ; @_ZN7rocprim17ROCPRIM_304000_NS6detail31onesweep_scan_histograms_kernelINS1_34wrapped_radix_sort_onesweep_configINS0_14default_configEmN2at4cuda3cub6detail10OpaqueTypeILi8EEEEEmEEvPT0_
; %bb.0:
	s_load_dwordx2 s[0:1], s[0:1], 0x0
	s_lshl_b32 s2, s2, 6
	s_mov_b32 s3, 0
	s_lshl_b64 s[2:3], s[2:3], 3
	v_cmp_gt_u32_e32 vcc, 64, v0
	s_waitcnt lgkmcnt(0)
	s_add_u32 s16, s0, s2
	s_addc_u32 s17, s1, s3
	v_cmp_lt_u32_e64 s[0:1], 63, v0
	v_lshlrev_b32_e32 v8, 3, v0
                                        ; implicit-def: $vgpr2_vgpr3
	s_and_saveexec_b64 s[2:3], vcc
	s_cbranch_execz .LBB11_2
; %bb.1:
	global_load_dwordx2 v[2:3], v8, s[16:17]
.LBB11_2:
	s_or_b64 exec, exec, s[2:3]
	v_mbcnt_lo_u32_b32 v1, -1, 0
	v_mov_b32_e32 v6, 0
	v_mbcnt_hi_u32_b32 v9, -1, v1
	s_waitcnt vmcnt(0)
	v_mov_b32_dpp v4, v2 row_shr:1 row_mask:0xf bank_mask:0xf
	v_mov_b32_e32 v5, v6
	v_and_b32_e32 v1, 15, v9
	v_mov_b32_dpp v7, v3 row_shr:1 row_mask:0xf bank_mask:0xf
	v_lshl_add_u64 v[4:5], v[2:3], 0, v[4:5]
	v_lshl_add_u64 v[6:7], v[6:7], 0, v[4:5]
	v_cmp_eq_u32_e64 s[6:7], 0, v1
	v_cmp_lt_u32_e64 s[8:9], 1, v1
	v_cmp_lt_u32_e64 s[4:5], 3, v1
	v_cndmask_b32_e64 v10, v4, v2, s[6:7]
	v_cndmask_b32_e64 v5, v7, v3, s[6:7]
	v_cndmask_b32_e64 v4, v6, v2, s[6:7]
	v_mov_b32_dpp v6, v10 row_shr:2 row_mask:0xf bank_mask:0xf
	v_mov_b32_dpp v7, v5 row_shr:2 row_mask:0xf bank_mask:0xf
	v_lshl_add_u64 v[6:7], v[6:7], 0, v[4:5]
	v_cndmask_b32_e64 v10, v10, v6, s[8:9]
	v_cndmask_b32_e64 v5, v5, v7, s[8:9]
	v_cndmask_b32_e64 v4, v4, v6, s[8:9]
	v_mov_b32_dpp v6, v10 row_shr:4 row_mask:0xf bank_mask:0xf
	v_mov_b32_dpp v7, v5 row_shr:4 row_mask:0xf bank_mask:0xf
	v_lshl_add_u64 v[6:7], v[6:7], 0, v[4:5]
	v_cndmask_b32_e64 v10, v10, v6, s[4:5]
	v_cndmask_b32_e64 v5, v5, v7, s[4:5]
	v_cndmask_b32_e64 v4, v4, v6, s[4:5]
	v_mov_b32_dpp v6, v10 row_shr:8 row_mask:0xf bank_mask:0xf
	v_mov_b32_dpp v7, v5 row_shr:8 row_mask:0xf bank_mask:0xf
	v_lshl_add_u64 v[6:7], v[6:7], 0, v[4:5]
	v_cmp_lt_u32_e64 s[10:11], 7, v1
	v_cmp_eq_u32_e64 s[2:3], 0, v9
	v_cmp_ne_u32_e64 s[14:15], 0, v9
	v_cndmask_b32_e64 v1, v10, v6, s[10:11]
	v_cndmask_b32_e64 v5, v5, v7, s[10:11]
	;; [unrolled: 1-line block ×3, first 2 shown]
	v_mov_b32_dpp v6, v1 row_bcast:15 row_mask:0xf bank_mask:0xf
	v_mov_b32_dpp v7, v5 row_bcast:15 row_mask:0xf bank_mask:0xf
	v_and_b32_e32 v10, 16, v9
	v_lshl_add_u64 v[6:7], v[6:7], 0, v[4:5]
	v_cmp_eq_u32_e64 s[12:13], 0, v10
	s_nop 1
	v_cndmask_b32_e64 v10, v7, v5, s[12:13]
	v_cndmask_b32_e64 v1, v6, v1, s[12:13]
	s_nop 0
	v_mov_b32_dpp v10, v10 row_bcast:31 row_mask:0xf bank_mask:0xf
	v_mov_b32_dpp v1, v1 row_bcast:31 row_mask:0xf bank_mask:0xf
	s_and_saveexec_b64 s[18:19], s[14:15]
; %bb.3:
	v_cndmask_b32_e64 v3, v7, v5, s[12:13]
	v_cndmask_b32_e64 v2, v6, v4, s[12:13]
	v_cmp_lt_u32_e64 s[12:13], 31, v9
	s_nop 1
	v_cndmask_b32_e64 v5, 0, v10, s[12:13]
	v_cndmask_b32_e64 v4, 0, v1, s[12:13]
	v_lshl_add_u64 v[2:3], v[4:5], 0, v[2:3]
; %bb.4:
	s_or_b64 exec, exec, s[18:19]
	v_and_b32_e32 v1, 63, v0
	v_lshrrev_b32_e32 v4, 6, v0
	v_cmp_eq_u32_e64 s[12:13], 63, v1
	s_and_saveexec_b64 s[14:15], s[12:13]
; %bb.5:
	v_lshlrev_b32_e32 v1, 3, v4
	ds_write_b64 v1, v[2:3]
; %bb.6:
	s_or_b64 exec, exec, s[14:15]
	v_cmp_gt_u32_e64 s[12:13], 16, v0
	s_waitcnt lgkmcnt(0)
	s_barrier
	s_and_saveexec_b64 s[14:15], s[12:13]
	s_cbranch_execz .LBB11_8
; %bb.7:
	ds_read_b64 v[0:1], v8
	v_mov_b32_e32 v6, 0
	v_mov_b32_e32 v11, v6
	s_waitcnt lgkmcnt(0)
	v_mov_b32_dpp v10, v0 row_shr:1 row_mask:0xf bank_mask:0xf
	v_mov_b32_dpp v7, v1 row_shr:1 row_mask:0xf bank_mask:0xf
	v_lshl_add_u64 v[10:11], v[0:1], 0, v[10:11]
	v_lshl_add_u64 v[12:13], v[6:7], 0, v[10:11]
	v_cndmask_b32_e64 v5, v10, v0, s[6:7]
	v_cndmask_b32_e64 v13, v13, v1, s[6:7]
	;; [unrolled: 1-line block ×3, first 2 shown]
	v_mov_b32_dpp v0, v5 row_shr:2 row_mask:0xf bank_mask:0xf
	v_mov_b32_e32 v1, v6
	v_mov_b32_dpp v7, v13 row_shr:2 row_mask:0xf bank_mask:0xf
	v_lshl_add_u64 v[0:1], v[12:13], 0, v[0:1]
	v_lshl_add_u64 v[10:11], v[0:1], 0, v[6:7]
	v_cndmask_b32_e64 v5, v5, v0, s[8:9]
	v_cndmask_b32_e64 v1, v13, v11, s[8:9]
	v_cndmask_b32_e64 v0, v12, v10, s[8:9]
	v_mov_b32_dpp v10, v5 row_shr:4 row_mask:0xf bank_mask:0xf
	v_mov_b32_e32 v11, v6
	v_mov_b32_dpp v7, v1 row_shr:4 row_mask:0xf bank_mask:0xf
	v_lshl_add_u64 v[10:11], v[0:1], 0, v[10:11]
	v_lshl_add_u64 v[6:7], v[10:11], 0, v[6:7]
	v_cndmask_b32_e64 v1, v1, v7, s[4:5]
	v_cndmask_b32_e64 v5, v5, v10, s[4:5]
	;; [unrolled: 1-line block ×3, first 2 shown]
	v_mov_b32_dpp v7, v1 row_shr:8 row_mask:0xf bank_mask:0xf
	v_mov_b32_dpp v5, v5 row_shr:8 row_mask:0xf bank_mask:0xf
	v_cndmask_b32_e64 v6, 0, v5, s[10:11]
	v_cndmask_b32_e64 v7, 0, v7, s[10:11]
	v_lshl_add_u64 v[0:1], v[6:7], 0, v[0:1]
	ds_write_b64 v8, v[0:1]
.LBB11_8:
	s_or_b64 exec, exec, s[14:15]
	v_mov_b64_e32 v[0:1], 0
	s_waitcnt lgkmcnt(0)
	s_barrier
	s_and_saveexec_b64 s[4:5], s[0:1]
; %bb.9:
	v_lshl_add_u32 v0, v4, 3, -8
	ds_read_b64 v[0:1], v0
; %bb.10:
	s_or_b64 exec, exec, s[4:5]
	v_add_u32_e32 v4, -1, v9
	v_and_b32_e32 v5, 64, v9
	v_cmp_lt_i32_e64 s[0:1], v4, v5
	s_waitcnt lgkmcnt(0)
	v_lshl_add_u64 v[2:3], v[0:1], 0, v[2:3]
	v_cndmask_b32_e64 v4, v4, v9, s[0:1]
	v_lshlrev_b32_e32 v4, 2, v4
	ds_bpermute_b32 v2, v4, v2
	ds_bpermute_b32 v3, v4, v3
	s_and_saveexec_b64 s[0:1], vcc
	s_cbranch_execz .LBB11_12
; %bb.11:
	s_waitcnt lgkmcnt(0)
	v_cndmask_b32_e64 v1, v3, v1, s[2:3]
	v_cndmask_b32_e64 v0, v2, v0, s[2:3]
	global_store_dwordx2 v8, v[0:1], s[16:17]
.LBB11_12:
	s_endpgm
	.section	.rodata,"a",@progbits
	.p2align	6, 0x0
	.amdhsa_kernel _ZN7rocprim17ROCPRIM_304000_NS6detail31onesweep_scan_histograms_kernelINS1_34wrapped_radix_sort_onesweep_configINS0_14default_configEmN2at4cuda3cub6detail10OpaqueTypeILi8EEEEEmEEvPT0_
		.amdhsa_group_segment_fixed_size 128
		.amdhsa_private_segment_fixed_size 0
		.amdhsa_kernarg_size 8
		.amdhsa_user_sgpr_count 2
		.amdhsa_user_sgpr_dispatch_ptr 0
		.amdhsa_user_sgpr_queue_ptr 0
		.amdhsa_user_sgpr_kernarg_segment_ptr 1
		.amdhsa_user_sgpr_dispatch_id 0
		.amdhsa_user_sgpr_kernarg_preload_length 0
		.amdhsa_user_sgpr_kernarg_preload_offset 0
		.amdhsa_user_sgpr_private_segment_size 0
		.amdhsa_uses_dynamic_stack 0
		.amdhsa_enable_private_segment 0
		.amdhsa_system_sgpr_workgroup_id_x 1
		.amdhsa_system_sgpr_workgroup_id_y 0
		.amdhsa_system_sgpr_workgroup_id_z 0
		.amdhsa_system_sgpr_workgroup_info 0
		.amdhsa_system_vgpr_workitem_id 0
		.amdhsa_next_free_vgpr 14
		.amdhsa_next_free_sgpr 20
		.amdhsa_accum_offset 16
		.amdhsa_reserve_vcc 1
		.amdhsa_float_round_mode_32 0
		.amdhsa_float_round_mode_16_64 0
		.amdhsa_float_denorm_mode_32 3
		.amdhsa_float_denorm_mode_16_64 3
		.amdhsa_dx10_clamp 1
		.amdhsa_ieee_mode 1
		.amdhsa_fp16_overflow 0
		.amdhsa_tg_split 0
		.amdhsa_exception_fp_ieee_invalid_op 0
		.amdhsa_exception_fp_denorm_src 0
		.amdhsa_exception_fp_ieee_div_zero 0
		.amdhsa_exception_fp_ieee_overflow 0
		.amdhsa_exception_fp_ieee_underflow 0
		.amdhsa_exception_fp_ieee_inexact 0
		.amdhsa_exception_int_div_zero 0
	.end_amdhsa_kernel
	.section	.text._ZN7rocprim17ROCPRIM_304000_NS6detail31onesweep_scan_histograms_kernelINS1_34wrapped_radix_sort_onesweep_configINS0_14default_configEmN2at4cuda3cub6detail10OpaqueTypeILi8EEEEEmEEvPT0_,"axG",@progbits,_ZN7rocprim17ROCPRIM_304000_NS6detail31onesweep_scan_histograms_kernelINS1_34wrapped_radix_sort_onesweep_configINS0_14default_configEmN2at4cuda3cub6detail10OpaqueTypeILi8EEEEEmEEvPT0_,comdat
.Lfunc_end11:
	.size	_ZN7rocprim17ROCPRIM_304000_NS6detail31onesweep_scan_histograms_kernelINS1_34wrapped_radix_sort_onesweep_configINS0_14default_configEmN2at4cuda3cub6detail10OpaqueTypeILi8EEEEEmEEvPT0_, .Lfunc_end11-_ZN7rocprim17ROCPRIM_304000_NS6detail31onesweep_scan_histograms_kernelINS1_34wrapped_radix_sort_onesweep_configINS0_14default_configEmN2at4cuda3cub6detail10OpaqueTypeILi8EEEEEmEEvPT0_
                                        ; -- End function
	.set _ZN7rocprim17ROCPRIM_304000_NS6detail31onesweep_scan_histograms_kernelINS1_34wrapped_radix_sort_onesweep_configINS0_14default_configEmN2at4cuda3cub6detail10OpaqueTypeILi8EEEEEmEEvPT0_.num_vgpr, 14
	.set _ZN7rocprim17ROCPRIM_304000_NS6detail31onesweep_scan_histograms_kernelINS1_34wrapped_radix_sort_onesweep_configINS0_14default_configEmN2at4cuda3cub6detail10OpaqueTypeILi8EEEEEmEEvPT0_.num_agpr, 0
	.set _ZN7rocprim17ROCPRIM_304000_NS6detail31onesweep_scan_histograms_kernelINS1_34wrapped_radix_sort_onesweep_configINS0_14default_configEmN2at4cuda3cub6detail10OpaqueTypeILi8EEEEEmEEvPT0_.numbered_sgpr, 20
	.set _ZN7rocprim17ROCPRIM_304000_NS6detail31onesweep_scan_histograms_kernelINS1_34wrapped_radix_sort_onesweep_configINS0_14default_configEmN2at4cuda3cub6detail10OpaqueTypeILi8EEEEEmEEvPT0_.num_named_barrier, 0
	.set _ZN7rocprim17ROCPRIM_304000_NS6detail31onesweep_scan_histograms_kernelINS1_34wrapped_radix_sort_onesweep_configINS0_14default_configEmN2at4cuda3cub6detail10OpaqueTypeILi8EEEEEmEEvPT0_.private_seg_size, 0
	.set _ZN7rocprim17ROCPRIM_304000_NS6detail31onesweep_scan_histograms_kernelINS1_34wrapped_radix_sort_onesweep_configINS0_14default_configEmN2at4cuda3cub6detail10OpaqueTypeILi8EEEEEmEEvPT0_.uses_vcc, 1
	.set _ZN7rocprim17ROCPRIM_304000_NS6detail31onesweep_scan_histograms_kernelINS1_34wrapped_radix_sort_onesweep_configINS0_14default_configEmN2at4cuda3cub6detail10OpaqueTypeILi8EEEEEmEEvPT0_.uses_flat_scratch, 0
	.set _ZN7rocprim17ROCPRIM_304000_NS6detail31onesweep_scan_histograms_kernelINS1_34wrapped_radix_sort_onesweep_configINS0_14default_configEmN2at4cuda3cub6detail10OpaqueTypeILi8EEEEEmEEvPT0_.has_dyn_sized_stack, 0
	.set _ZN7rocprim17ROCPRIM_304000_NS6detail31onesweep_scan_histograms_kernelINS1_34wrapped_radix_sort_onesweep_configINS0_14default_configEmN2at4cuda3cub6detail10OpaqueTypeILi8EEEEEmEEvPT0_.has_recursion, 0
	.set _ZN7rocprim17ROCPRIM_304000_NS6detail31onesweep_scan_histograms_kernelINS1_34wrapped_radix_sort_onesweep_configINS0_14default_configEmN2at4cuda3cub6detail10OpaqueTypeILi8EEEEEmEEvPT0_.has_indirect_call, 0
	.section	.AMDGPU.csdata,"",@progbits
; Kernel info:
; codeLenInByte = 924
; TotalNumSgprs: 26
; NumVgprs: 14
; NumAgprs: 0
; TotalNumVgprs: 14
; ScratchSize: 0
; MemoryBound: 0
; FloatMode: 240
; IeeeMode: 1
; LDSByteSize: 128 bytes/workgroup (compile time only)
; SGPRBlocks: 3
; VGPRBlocks: 1
; NumSGPRsForWavesPerEU: 26
; NumVGPRsForWavesPerEU: 14
; AccumOffset: 16
; Occupancy: 8
; WaveLimiterHint : 0
; COMPUTE_PGM_RSRC2:SCRATCH_EN: 0
; COMPUTE_PGM_RSRC2:USER_SGPR: 2
; COMPUTE_PGM_RSRC2:TRAP_HANDLER: 0
; COMPUTE_PGM_RSRC2:TGID_X_EN: 1
; COMPUTE_PGM_RSRC2:TGID_Y_EN: 0
; COMPUTE_PGM_RSRC2:TGID_Z_EN: 0
; COMPUTE_PGM_RSRC2:TIDIG_COMP_CNT: 0
; COMPUTE_PGM_RSRC3_GFX90A:ACCUM_OFFSET: 3
; COMPUTE_PGM_RSRC3_GFX90A:TG_SPLIT: 0
	.section	.text._ZN7rocprim17ROCPRIM_304000_NS6detail16transform_kernelINS1_24wrapped_transform_configINS0_14default_configEmEEmPKmPmNS0_8identityImEEEEvT1_mT2_T3_,"axG",@progbits,_ZN7rocprim17ROCPRIM_304000_NS6detail16transform_kernelINS1_24wrapped_transform_configINS0_14default_configEmEEmPKmPmNS0_8identityImEEEEvT1_mT2_T3_,comdat
	.protected	_ZN7rocprim17ROCPRIM_304000_NS6detail16transform_kernelINS1_24wrapped_transform_configINS0_14default_configEmEEmPKmPmNS0_8identityImEEEEvT1_mT2_T3_ ; -- Begin function _ZN7rocprim17ROCPRIM_304000_NS6detail16transform_kernelINS1_24wrapped_transform_configINS0_14default_configEmEEmPKmPmNS0_8identityImEEEEvT1_mT2_T3_
	.globl	_ZN7rocprim17ROCPRIM_304000_NS6detail16transform_kernelINS1_24wrapped_transform_configINS0_14default_configEmEEmPKmPmNS0_8identityImEEEEvT1_mT2_T3_
	.p2align	8
	.type	_ZN7rocprim17ROCPRIM_304000_NS6detail16transform_kernelINS1_24wrapped_transform_configINS0_14default_configEmEEmPKmPmNS0_8identityImEEEEvT1_mT2_T3_,@function
_ZN7rocprim17ROCPRIM_304000_NS6detail16transform_kernelINS1_24wrapped_transform_configINS0_14default_configEmEEmPKmPmNS0_8identityImEEEEvT1_mT2_T3_: ; @_ZN7rocprim17ROCPRIM_304000_NS6detail16transform_kernelINS1_24wrapped_transform_configINS0_14default_configEmEEmPKmPmNS0_8identityImEEEEvT1_mT2_T3_
; %bb.0:
	s_load_dword s3, s[0:1], 0x20
	s_load_dwordx4 s[4:7], s[0:1], 0x0
	s_lshl_b32 s8, s2, 7
	s_waitcnt lgkmcnt(0)
	s_add_i32 s3, s3, -1
	s_cmp_lg_u32 s2, s3
	s_cselect_b64 s[2:3], -1, 0
	s_sub_i32 s6, s6, s8
	v_cmp_gt_u32_e32 vcc, s6, v0
	s_or_b64 s[2:3], vcc, s[2:3]
	s_and_saveexec_b64 s[6:7], s[2:3]
	s_cbranch_execz .LBB12_2
; %bb.1:
	s_load_dwordx2 s[0:1], s[0:1], 0x10
	s_mov_b32 s9, 0
	s_lshl_b64 s[2:3], s[8:9], 3
	v_lshlrev_b32_e32 v2, 3, v0
	s_waitcnt lgkmcnt(0)
	s_add_u32 s0, s0, s2
	s_addc_u32 s1, s1, s3
	s_add_u32 s2, s4, s2
	s_addc_u32 s3, s5, s3
	global_load_dwordx2 v[0:1], v2, s[2:3]
	s_waitcnt vmcnt(0)
	global_store_dwordx2 v2, v[0:1], s[0:1]
.LBB12_2:
	s_endpgm
	.section	.rodata,"a",@progbits
	.p2align	6, 0x0
	.amdhsa_kernel _ZN7rocprim17ROCPRIM_304000_NS6detail16transform_kernelINS1_24wrapped_transform_configINS0_14default_configEmEEmPKmPmNS0_8identityImEEEEvT1_mT2_T3_
		.amdhsa_group_segment_fixed_size 0
		.amdhsa_private_segment_fixed_size 0
		.amdhsa_kernarg_size 288
		.amdhsa_user_sgpr_count 2
		.amdhsa_user_sgpr_dispatch_ptr 0
		.amdhsa_user_sgpr_queue_ptr 0
		.amdhsa_user_sgpr_kernarg_segment_ptr 1
		.amdhsa_user_sgpr_dispatch_id 0
		.amdhsa_user_sgpr_kernarg_preload_length 0
		.amdhsa_user_sgpr_kernarg_preload_offset 0
		.amdhsa_user_sgpr_private_segment_size 0
		.amdhsa_uses_dynamic_stack 0
		.amdhsa_enable_private_segment 0
		.amdhsa_system_sgpr_workgroup_id_x 1
		.amdhsa_system_sgpr_workgroup_id_y 0
		.amdhsa_system_sgpr_workgroup_id_z 0
		.amdhsa_system_sgpr_workgroup_info 0
		.amdhsa_system_vgpr_workitem_id 0
		.amdhsa_next_free_vgpr 3
		.amdhsa_next_free_sgpr 10
		.amdhsa_accum_offset 4
		.amdhsa_reserve_vcc 1
		.amdhsa_float_round_mode_32 0
		.amdhsa_float_round_mode_16_64 0
		.amdhsa_float_denorm_mode_32 3
		.amdhsa_float_denorm_mode_16_64 3
		.amdhsa_dx10_clamp 1
		.amdhsa_ieee_mode 1
		.amdhsa_fp16_overflow 0
		.amdhsa_tg_split 0
		.amdhsa_exception_fp_ieee_invalid_op 0
		.amdhsa_exception_fp_denorm_src 0
		.amdhsa_exception_fp_ieee_div_zero 0
		.amdhsa_exception_fp_ieee_overflow 0
		.amdhsa_exception_fp_ieee_underflow 0
		.amdhsa_exception_fp_ieee_inexact 0
		.amdhsa_exception_int_div_zero 0
	.end_amdhsa_kernel
	.section	.text._ZN7rocprim17ROCPRIM_304000_NS6detail16transform_kernelINS1_24wrapped_transform_configINS0_14default_configEmEEmPKmPmNS0_8identityImEEEEvT1_mT2_T3_,"axG",@progbits,_ZN7rocprim17ROCPRIM_304000_NS6detail16transform_kernelINS1_24wrapped_transform_configINS0_14default_configEmEEmPKmPmNS0_8identityImEEEEvT1_mT2_T3_,comdat
.Lfunc_end12:
	.size	_ZN7rocprim17ROCPRIM_304000_NS6detail16transform_kernelINS1_24wrapped_transform_configINS0_14default_configEmEEmPKmPmNS0_8identityImEEEEvT1_mT2_T3_, .Lfunc_end12-_ZN7rocprim17ROCPRIM_304000_NS6detail16transform_kernelINS1_24wrapped_transform_configINS0_14default_configEmEEmPKmPmNS0_8identityImEEEEvT1_mT2_T3_
                                        ; -- End function
	.set _ZN7rocprim17ROCPRIM_304000_NS6detail16transform_kernelINS1_24wrapped_transform_configINS0_14default_configEmEEmPKmPmNS0_8identityImEEEEvT1_mT2_T3_.num_vgpr, 3
	.set _ZN7rocprim17ROCPRIM_304000_NS6detail16transform_kernelINS1_24wrapped_transform_configINS0_14default_configEmEEmPKmPmNS0_8identityImEEEEvT1_mT2_T3_.num_agpr, 0
	.set _ZN7rocprim17ROCPRIM_304000_NS6detail16transform_kernelINS1_24wrapped_transform_configINS0_14default_configEmEEmPKmPmNS0_8identityImEEEEvT1_mT2_T3_.numbered_sgpr, 10
	.set _ZN7rocprim17ROCPRIM_304000_NS6detail16transform_kernelINS1_24wrapped_transform_configINS0_14default_configEmEEmPKmPmNS0_8identityImEEEEvT1_mT2_T3_.num_named_barrier, 0
	.set _ZN7rocprim17ROCPRIM_304000_NS6detail16transform_kernelINS1_24wrapped_transform_configINS0_14default_configEmEEmPKmPmNS0_8identityImEEEEvT1_mT2_T3_.private_seg_size, 0
	.set _ZN7rocprim17ROCPRIM_304000_NS6detail16transform_kernelINS1_24wrapped_transform_configINS0_14default_configEmEEmPKmPmNS0_8identityImEEEEvT1_mT2_T3_.uses_vcc, 1
	.set _ZN7rocprim17ROCPRIM_304000_NS6detail16transform_kernelINS1_24wrapped_transform_configINS0_14default_configEmEEmPKmPmNS0_8identityImEEEEvT1_mT2_T3_.uses_flat_scratch, 0
	.set _ZN7rocprim17ROCPRIM_304000_NS6detail16transform_kernelINS1_24wrapped_transform_configINS0_14default_configEmEEmPKmPmNS0_8identityImEEEEvT1_mT2_T3_.has_dyn_sized_stack, 0
	.set _ZN7rocprim17ROCPRIM_304000_NS6detail16transform_kernelINS1_24wrapped_transform_configINS0_14default_configEmEEmPKmPmNS0_8identityImEEEEvT1_mT2_T3_.has_recursion, 0
	.set _ZN7rocprim17ROCPRIM_304000_NS6detail16transform_kernelINS1_24wrapped_transform_configINS0_14default_configEmEEmPKmPmNS0_8identityImEEEEvT1_mT2_T3_.has_indirect_call, 0
	.section	.AMDGPU.csdata,"",@progbits
; Kernel info:
; codeLenInByte = 120
; TotalNumSgprs: 16
; NumVgprs: 3
; NumAgprs: 0
; TotalNumVgprs: 3
; ScratchSize: 0
; MemoryBound: 0
; FloatMode: 240
; IeeeMode: 1
; LDSByteSize: 0 bytes/workgroup (compile time only)
; SGPRBlocks: 1
; VGPRBlocks: 0
; NumSGPRsForWavesPerEU: 16
; NumVGPRsForWavesPerEU: 3
; AccumOffset: 4
; Occupancy: 8
; WaveLimiterHint : 0
; COMPUTE_PGM_RSRC2:SCRATCH_EN: 0
; COMPUTE_PGM_RSRC2:USER_SGPR: 2
; COMPUTE_PGM_RSRC2:TRAP_HANDLER: 0
; COMPUTE_PGM_RSRC2:TGID_X_EN: 1
; COMPUTE_PGM_RSRC2:TGID_Y_EN: 0
; COMPUTE_PGM_RSRC2:TGID_Z_EN: 0
; COMPUTE_PGM_RSRC2:TIDIG_COMP_CNT: 0
; COMPUTE_PGM_RSRC3_GFX90A:ACCUM_OFFSET: 0
; COMPUTE_PGM_RSRC3_GFX90A:TG_SPLIT: 0
	.section	.text._ZN7rocprim17ROCPRIM_304000_NS6detail16transform_kernelINS1_24wrapped_transform_configINS0_14default_configEN2at4cuda3cub6detail10OpaqueTypeILi8EEEEESA_PKSA_PSA_NS0_8identityISA_EEEEvT1_mT2_T3_,"axG",@progbits,_ZN7rocprim17ROCPRIM_304000_NS6detail16transform_kernelINS1_24wrapped_transform_configINS0_14default_configEN2at4cuda3cub6detail10OpaqueTypeILi8EEEEESA_PKSA_PSA_NS0_8identityISA_EEEEvT1_mT2_T3_,comdat
	.protected	_ZN7rocprim17ROCPRIM_304000_NS6detail16transform_kernelINS1_24wrapped_transform_configINS0_14default_configEN2at4cuda3cub6detail10OpaqueTypeILi8EEEEESA_PKSA_PSA_NS0_8identityISA_EEEEvT1_mT2_T3_ ; -- Begin function _ZN7rocprim17ROCPRIM_304000_NS6detail16transform_kernelINS1_24wrapped_transform_configINS0_14default_configEN2at4cuda3cub6detail10OpaqueTypeILi8EEEEESA_PKSA_PSA_NS0_8identityISA_EEEEvT1_mT2_T3_
	.globl	_ZN7rocprim17ROCPRIM_304000_NS6detail16transform_kernelINS1_24wrapped_transform_configINS0_14default_configEN2at4cuda3cub6detail10OpaqueTypeILi8EEEEESA_PKSA_PSA_NS0_8identityISA_EEEEvT1_mT2_T3_
	.p2align	8
	.type	_ZN7rocprim17ROCPRIM_304000_NS6detail16transform_kernelINS1_24wrapped_transform_configINS0_14default_configEN2at4cuda3cub6detail10OpaqueTypeILi8EEEEESA_PKSA_PSA_NS0_8identityISA_EEEEvT1_mT2_T3_,@function
_ZN7rocprim17ROCPRIM_304000_NS6detail16transform_kernelINS1_24wrapped_transform_configINS0_14default_configEN2at4cuda3cub6detail10OpaqueTypeILi8EEEEESA_PKSA_PSA_NS0_8identityISA_EEEEvT1_mT2_T3_: ; @_ZN7rocprim17ROCPRIM_304000_NS6detail16transform_kernelINS1_24wrapped_transform_configINS0_14default_configEN2at4cuda3cub6detail10OpaqueTypeILi8EEEEESA_PKSA_PSA_NS0_8identityISA_EEEEvT1_mT2_T3_
; %bb.0:
	s_load_dword s3, s[0:1], 0x20
	s_load_dwordx4 s[4:7], s[0:1], 0x0
	s_lshl_b32 s8, s2, 7
	s_waitcnt lgkmcnt(0)
	s_add_i32 s3, s3, -1
	s_cmp_lg_u32 s2, s3
	s_cselect_b64 s[2:3], -1, 0
	s_sub_i32 s6, s6, s8
	v_cmp_gt_u32_e32 vcc, s6, v0
	s_or_b64 s[2:3], vcc, s[2:3]
	s_and_saveexec_b64 s[6:7], s[2:3]
	s_cbranch_execz .LBB13_2
; %bb.1:
	s_load_dwordx2 s[0:1], s[0:1], 0x10
	s_mov_b32 s9, 0
	s_lshl_b64 s[2:3], s[8:9], 3
	v_lshlrev_b32_e32 v2, 3, v0
	s_waitcnt lgkmcnt(0)
	s_add_u32 s0, s0, s2
	s_addc_u32 s1, s1, s3
	s_add_u32 s2, s4, s2
	s_addc_u32 s3, s5, s3
	global_load_dwordx2 v[0:1], v2, s[2:3]
	s_waitcnt vmcnt(0)
	global_store_dwordx2 v2, v[0:1], s[0:1]
.LBB13_2:
	s_endpgm
	.section	.rodata,"a",@progbits
	.p2align	6, 0x0
	.amdhsa_kernel _ZN7rocprim17ROCPRIM_304000_NS6detail16transform_kernelINS1_24wrapped_transform_configINS0_14default_configEN2at4cuda3cub6detail10OpaqueTypeILi8EEEEESA_PKSA_PSA_NS0_8identityISA_EEEEvT1_mT2_T3_
		.amdhsa_group_segment_fixed_size 0
		.amdhsa_private_segment_fixed_size 0
		.amdhsa_kernarg_size 288
		.amdhsa_user_sgpr_count 2
		.amdhsa_user_sgpr_dispatch_ptr 0
		.amdhsa_user_sgpr_queue_ptr 0
		.amdhsa_user_sgpr_kernarg_segment_ptr 1
		.amdhsa_user_sgpr_dispatch_id 0
		.amdhsa_user_sgpr_kernarg_preload_length 0
		.amdhsa_user_sgpr_kernarg_preload_offset 0
		.amdhsa_user_sgpr_private_segment_size 0
		.amdhsa_uses_dynamic_stack 0
		.amdhsa_enable_private_segment 0
		.amdhsa_system_sgpr_workgroup_id_x 1
		.amdhsa_system_sgpr_workgroup_id_y 0
		.amdhsa_system_sgpr_workgroup_id_z 0
		.amdhsa_system_sgpr_workgroup_info 0
		.amdhsa_system_vgpr_workitem_id 0
		.amdhsa_next_free_vgpr 3
		.amdhsa_next_free_sgpr 10
		.amdhsa_accum_offset 4
		.amdhsa_reserve_vcc 1
		.amdhsa_float_round_mode_32 0
		.amdhsa_float_round_mode_16_64 0
		.amdhsa_float_denorm_mode_32 3
		.amdhsa_float_denorm_mode_16_64 3
		.amdhsa_dx10_clamp 1
		.amdhsa_ieee_mode 1
		.amdhsa_fp16_overflow 0
		.amdhsa_tg_split 0
		.amdhsa_exception_fp_ieee_invalid_op 0
		.amdhsa_exception_fp_denorm_src 0
		.amdhsa_exception_fp_ieee_div_zero 0
		.amdhsa_exception_fp_ieee_overflow 0
		.amdhsa_exception_fp_ieee_underflow 0
		.amdhsa_exception_fp_ieee_inexact 0
		.amdhsa_exception_int_div_zero 0
	.end_amdhsa_kernel
	.section	.text._ZN7rocprim17ROCPRIM_304000_NS6detail16transform_kernelINS1_24wrapped_transform_configINS0_14default_configEN2at4cuda3cub6detail10OpaqueTypeILi8EEEEESA_PKSA_PSA_NS0_8identityISA_EEEEvT1_mT2_T3_,"axG",@progbits,_ZN7rocprim17ROCPRIM_304000_NS6detail16transform_kernelINS1_24wrapped_transform_configINS0_14default_configEN2at4cuda3cub6detail10OpaqueTypeILi8EEEEESA_PKSA_PSA_NS0_8identityISA_EEEEvT1_mT2_T3_,comdat
.Lfunc_end13:
	.size	_ZN7rocprim17ROCPRIM_304000_NS6detail16transform_kernelINS1_24wrapped_transform_configINS0_14default_configEN2at4cuda3cub6detail10OpaqueTypeILi8EEEEESA_PKSA_PSA_NS0_8identityISA_EEEEvT1_mT2_T3_, .Lfunc_end13-_ZN7rocprim17ROCPRIM_304000_NS6detail16transform_kernelINS1_24wrapped_transform_configINS0_14default_configEN2at4cuda3cub6detail10OpaqueTypeILi8EEEEESA_PKSA_PSA_NS0_8identityISA_EEEEvT1_mT2_T3_
                                        ; -- End function
	.set _ZN7rocprim17ROCPRIM_304000_NS6detail16transform_kernelINS1_24wrapped_transform_configINS0_14default_configEN2at4cuda3cub6detail10OpaqueTypeILi8EEEEESA_PKSA_PSA_NS0_8identityISA_EEEEvT1_mT2_T3_.num_vgpr, 3
	.set _ZN7rocprim17ROCPRIM_304000_NS6detail16transform_kernelINS1_24wrapped_transform_configINS0_14default_configEN2at4cuda3cub6detail10OpaqueTypeILi8EEEEESA_PKSA_PSA_NS0_8identityISA_EEEEvT1_mT2_T3_.num_agpr, 0
	.set _ZN7rocprim17ROCPRIM_304000_NS6detail16transform_kernelINS1_24wrapped_transform_configINS0_14default_configEN2at4cuda3cub6detail10OpaqueTypeILi8EEEEESA_PKSA_PSA_NS0_8identityISA_EEEEvT1_mT2_T3_.numbered_sgpr, 10
	.set _ZN7rocprim17ROCPRIM_304000_NS6detail16transform_kernelINS1_24wrapped_transform_configINS0_14default_configEN2at4cuda3cub6detail10OpaqueTypeILi8EEEEESA_PKSA_PSA_NS0_8identityISA_EEEEvT1_mT2_T3_.num_named_barrier, 0
	.set _ZN7rocprim17ROCPRIM_304000_NS6detail16transform_kernelINS1_24wrapped_transform_configINS0_14default_configEN2at4cuda3cub6detail10OpaqueTypeILi8EEEEESA_PKSA_PSA_NS0_8identityISA_EEEEvT1_mT2_T3_.private_seg_size, 0
	.set _ZN7rocprim17ROCPRIM_304000_NS6detail16transform_kernelINS1_24wrapped_transform_configINS0_14default_configEN2at4cuda3cub6detail10OpaqueTypeILi8EEEEESA_PKSA_PSA_NS0_8identityISA_EEEEvT1_mT2_T3_.uses_vcc, 1
	.set _ZN7rocprim17ROCPRIM_304000_NS6detail16transform_kernelINS1_24wrapped_transform_configINS0_14default_configEN2at4cuda3cub6detail10OpaqueTypeILi8EEEEESA_PKSA_PSA_NS0_8identityISA_EEEEvT1_mT2_T3_.uses_flat_scratch, 0
	.set _ZN7rocprim17ROCPRIM_304000_NS6detail16transform_kernelINS1_24wrapped_transform_configINS0_14default_configEN2at4cuda3cub6detail10OpaqueTypeILi8EEEEESA_PKSA_PSA_NS0_8identityISA_EEEEvT1_mT2_T3_.has_dyn_sized_stack, 0
	.set _ZN7rocprim17ROCPRIM_304000_NS6detail16transform_kernelINS1_24wrapped_transform_configINS0_14default_configEN2at4cuda3cub6detail10OpaqueTypeILi8EEEEESA_PKSA_PSA_NS0_8identityISA_EEEEvT1_mT2_T3_.has_recursion, 0
	.set _ZN7rocprim17ROCPRIM_304000_NS6detail16transform_kernelINS1_24wrapped_transform_configINS0_14default_configEN2at4cuda3cub6detail10OpaqueTypeILi8EEEEESA_PKSA_PSA_NS0_8identityISA_EEEEvT1_mT2_T3_.has_indirect_call, 0
	.section	.AMDGPU.csdata,"",@progbits
; Kernel info:
; codeLenInByte = 120
; TotalNumSgprs: 16
; NumVgprs: 3
; NumAgprs: 0
; TotalNumVgprs: 3
; ScratchSize: 0
; MemoryBound: 0
; FloatMode: 240
; IeeeMode: 1
; LDSByteSize: 0 bytes/workgroup (compile time only)
; SGPRBlocks: 1
; VGPRBlocks: 0
; NumSGPRsForWavesPerEU: 16
; NumVGPRsForWavesPerEU: 3
; AccumOffset: 4
; Occupancy: 8
; WaveLimiterHint : 0
; COMPUTE_PGM_RSRC2:SCRATCH_EN: 0
; COMPUTE_PGM_RSRC2:USER_SGPR: 2
; COMPUTE_PGM_RSRC2:TRAP_HANDLER: 0
; COMPUTE_PGM_RSRC2:TGID_X_EN: 1
; COMPUTE_PGM_RSRC2:TGID_Y_EN: 0
; COMPUTE_PGM_RSRC2:TGID_Z_EN: 0
; COMPUTE_PGM_RSRC2:TIDIG_COMP_CNT: 0
; COMPUTE_PGM_RSRC3_GFX90A:ACCUM_OFFSET: 0
; COMPUTE_PGM_RSRC3_GFX90A:TG_SPLIT: 0
	.section	.text._ZN7rocprim17ROCPRIM_304000_NS6detail25onesweep_iteration_kernelINS1_34wrapped_radix_sort_onesweep_configINS0_14default_configEmN2at4cuda3cub6detail10OpaqueTypeILi8EEEEELb1EPKmPmPKSA_PSA_mNS0_19identity_decomposerEEEvT1_T2_T3_T4_jPT5_SO_PNS1_23onesweep_lookback_stateET6_jjj,"axG",@progbits,_ZN7rocprim17ROCPRIM_304000_NS6detail25onesweep_iteration_kernelINS1_34wrapped_radix_sort_onesweep_configINS0_14default_configEmN2at4cuda3cub6detail10OpaqueTypeILi8EEEEELb1EPKmPmPKSA_PSA_mNS0_19identity_decomposerEEEvT1_T2_T3_T4_jPT5_SO_PNS1_23onesweep_lookback_stateET6_jjj,comdat
	.protected	_ZN7rocprim17ROCPRIM_304000_NS6detail25onesweep_iteration_kernelINS1_34wrapped_radix_sort_onesweep_configINS0_14default_configEmN2at4cuda3cub6detail10OpaqueTypeILi8EEEEELb1EPKmPmPKSA_PSA_mNS0_19identity_decomposerEEEvT1_T2_T3_T4_jPT5_SO_PNS1_23onesweep_lookback_stateET6_jjj ; -- Begin function _ZN7rocprim17ROCPRIM_304000_NS6detail25onesweep_iteration_kernelINS1_34wrapped_radix_sort_onesweep_configINS0_14default_configEmN2at4cuda3cub6detail10OpaqueTypeILi8EEEEELb1EPKmPmPKSA_PSA_mNS0_19identity_decomposerEEEvT1_T2_T3_T4_jPT5_SO_PNS1_23onesweep_lookback_stateET6_jjj
	.globl	_ZN7rocprim17ROCPRIM_304000_NS6detail25onesweep_iteration_kernelINS1_34wrapped_radix_sort_onesweep_configINS0_14default_configEmN2at4cuda3cub6detail10OpaqueTypeILi8EEEEELb1EPKmPmPKSA_PSA_mNS0_19identity_decomposerEEEvT1_T2_T3_T4_jPT5_SO_PNS1_23onesweep_lookback_stateET6_jjj
	.p2align	8
	.type	_ZN7rocprim17ROCPRIM_304000_NS6detail25onesweep_iteration_kernelINS1_34wrapped_radix_sort_onesweep_configINS0_14default_configEmN2at4cuda3cub6detail10OpaqueTypeILi8EEEEELb1EPKmPmPKSA_PSA_mNS0_19identity_decomposerEEEvT1_T2_T3_T4_jPT5_SO_PNS1_23onesweep_lookback_stateET6_jjj,@function
_ZN7rocprim17ROCPRIM_304000_NS6detail25onesweep_iteration_kernelINS1_34wrapped_radix_sort_onesweep_configINS0_14default_configEmN2at4cuda3cub6detail10OpaqueTypeILi8EEEEELb1EPKmPmPKSA_PSA_mNS0_19identity_decomposerEEEvT1_T2_T3_T4_jPT5_SO_PNS1_23onesweep_lookback_stateET6_jjj: ; @_ZN7rocprim17ROCPRIM_304000_NS6detail25onesweep_iteration_kernelINS1_34wrapped_radix_sort_onesweep_configINS0_14default_configEmN2at4cuda3cub6detail10OpaqueTypeILi8EEEEELb1EPKmPmPKSA_PSA_mNS0_19identity_decomposerEEEvT1_T2_T3_T4_jPT5_SO_PNS1_23onesweep_lookback_stateET6_jjj
; %bb.0:
	s_load_dwordx4 s[44:47], s[0:1], 0x44
	s_load_dwordx8 s[36:43], s[0:1], 0x0
	s_load_dwordx4 s[28:31], s[0:1], 0x28
	s_load_dwordx2 s[34:35], s[0:1], 0x38
	s_mov_b64 s[4:5], -1
	s_waitcnt lgkmcnt(0)
	s_cmp_ge_u32 s2, s46
	s_mul_i32 s48, s2, 0x1800
	v_mbcnt_lo_u32_b32 v1, -1, 0
	s_cbranch_scc0 .LBB14_96
; %bb.1:
	s_load_dword s3, s[0:1], 0x20
	s_mul_i32 s4, s46, 0xffffe800
	s_mov_b32 s49, 0
	s_lshl_b64 s[46:47], s[48:49], 3
	v_mbcnt_hi_u32_b32 v9, -1, v1
	s_waitcnt lgkmcnt(0)
	s_add_i32 s49, s4, s3
	s_add_u32 s4, s36, s46
	v_and_b32_e32 v2, 0x3c0, v0
	s_addc_u32 s5, s37, s47
	v_mul_u32_u24_e32 v8, 6, v2
	v_mov_b32_e32 v5, 0
	v_lshlrev_b32_e32 v4, 3, v9
	v_lshl_add_u64 v[2:3], s[4:5], 0, v[4:5]
	v_lshlrev_b32_e32 v6, 3, v8
	v_mov_b32_e32 v7, v5
	v_or_b32_e32 v5, v9, v8
	v_lshl_add_u64 v[2:3], v[2:3], 0, v[6:7]
	v_cmp_gt_u32_e32 vcc, s49, v5
	v_mov_b64_e32 v[10:11], -1
	v_mov_b64_e32 v[12:13], -1
	s_and_saveexec_b64 s[4:5], vcc
	s_cbranch_execz .LBB14_3
; %bb.2:
	global_load_dwordx2 v[12:13], v[2:3], off
	s_waitcnt vmcnt(0)
	v_not_b32_e32 v13, v13
	v_not_b32_e32 v12, v12
.LBB14_3:
	s_or_b64 exec, exec, s[4:5]
	v_add_u32_e32 v7, 64, v5
	v_cmp_gt_u32_e64 s[26:27], s49, v7
	s_and_saveexec_b64 s[4:5], s[26:27]
	s_cbranch_execz .LBB14_5
; %bb.4:
	global_load_dwordx2 v[10:11], v[2:3], off offset:512
	s_waitcnt vmcnt(0)
	v_not_b32_e32 v11, v11
	v_not_b32_e32 v10, v10
.LBB14_5:
	s_or_b64 exec, exec, s[4:5]
	v_add_u32_e32 v7, 0x80, v5
	v_cmp_gt_u32_e64 s[4:5], s49, v7
	v_mov_b64_e32 v[14:15], -1
	v_mov_b64_e32 v[16:17], -1
	s_and_saveexec_b64 s[6:7], s[4:5]
	s_cbranch_execz .LBB14_7
; %bb.6:
	global_load_dwordx2 v[16:17], v[2:3], off offset:1024
	s_waitcnt vmcnt(0)
	v_not_b32_e32 v17, v17
	v_not_b32_e32 v16, v16
.LBB14_7:
	s_or_b64 exec, exec, s[6:7]
	v_add_u32_e32 v7, 0xc0, v5
	v_cmp_gt_u32_e64 s[6:7], s49, v7
	s_and_saveexec_b64 s[8:9], s[6:7]
	s_cbranch_execz .LBB14_9
; %bb.8:
	global_load_dwordx2 v[14:15], v[2:3], off offset:1536
	s_waitcnt vmcnt(0)
	v_not_b32_e32 v15, v15
	v_not_b32_e32 v14, v14
.LBB14_9:
	s_or_b64 exec, exec, s[8:9]
	v_add_u32_e32 v7, 0x100, v5
	v_cmp_gt_u32_e64 s[8:9], s49, v7
	v_mov_b64_e32 v[18:19], -1
	v_mov_b64_e32 v[20:21], -1
	s_and_saveexec_b64 s[10:11], s[8:9]
	s_cbranch_execz .LBB14_11
; %bb.10:
	global_load_dwordx2 v[20:21], v[2:3], off offset:2048
	s_waitcnt vmcnt(0)
	v_not_b32_e32 v21, v21
	v_not_b32_e32 v20, v20
.LBB14_11:
	s_or_b64 exec, exec, s[10:11]
	v_add_u32_e32 v5, 0x140, v5
	v_and_b32_e32 v8, 0x3ff, v0
	v_cmp_gt_u32_e64 s[10:11], s49, v5
	s_and_saveexec_b64 s[12:13], s[10:11]
	s_cbranch_execz .LBB14_13
; %bb.12:
	global_load_dwordx2 v[2:3], v[2:3], off offset:2560
	s_waitcnt vmcnt(0)
	v_not_b32_e32 v19, v3
	v_not_b32_e32 v18, v2
.LBB14_13:
	s_or_b64 exec, exec, s[12:13]
	s_load_dword s12, s[0:1], 0x5c
	s_load_dword s3, s[0:1], 0x50
	s_add_u32 s13, s0, 0x50
	s_addc_u32 s14, s1, 0
	v_mov_b32_e32 v22, 0
	s_waitcnt lgkmcnt(0)
	s_lshr_b32 s15, s12, 16
	s_cmp_lt_u32 s2, s3
	s_cselect_b32 s12, 12, 18
	s_add_u32 s12, s13, s12
	s_addc_u32 s13, s14, 0
	global_load_ushort v5, v22, s[12:13]
	v_bfe_u32 v3, v0, 10, 10
	v_bfe_u32 v7, v0, 20, 10
	v_lshrrev_b64 v[24:25], s44, v[12:13]
	s_lshl_b32 s12, -1, s45
	v_lshlrev_b32_e32 v2, 3, v8
	v_mov_b32_e32 v23, v22
	v_mad_u32_u24 v7, v7, s15, v3
	v_bitop3_b32 v3, v24, s12, v24 bitop3:0x30
	v_mov_b32_e32 v25, v22
	ds_write_b64 v2, v[22:23] offset:64
	v_and_b32_e32 v24, 1, v3
	v_lshlrev_b32_e32 v23, 30, v3
	s_not_b32 s33, s12
	v_lshl_add_u64 v[26:27], v[24:25], 0, -1
	v_cmp_ne_u32_e64 s[12:13], 0, v24
	v_cmp_gt_i64_e64 s[14:15], 0, v[22:23]
	v_not_b32_e32 v24, v23
	v_lshlrev_b32_e32 v23, 29, v3
	v_xor_b32_e32 v25, s13, v27
	v_xor_b32_e32 v26, s12, v26
	v_ashrrev_i32_e32 v24, 31, v24
	v_cmp_gt_i64_e64 s[12:13], 0, v[22:23]
	v_not_b32_e32 v27, v23
	v_lshlrev_b32_e32 v23, 28, v3
	v_and_b32_e32 v25, exec_hi, v25
	v_and_b32_e32 v26, exec_lo, v26
	v_xor_b32_e32 v29, s15, v24
	v_xor_b32_e32 v24, s14, v24
	v_ashrrev_i32_e32 v27, 31, v27
	v_cmp_gt_i64_e64 s[14:15], 0, v[22:23]
	v_not_b32_e32 v30, v23
	v_lshlrev_b32_e32 v23, 27, v3
	s_movk_i32 s16, 0x44
	v_and_b32_e32 v25, v25, v29
	v_and_b32_e32 v24, v26, v24
	v_xor_b32_e32 v26, s13, v27
	v_xor_b32_e32 v27, s12, v27
	v_ashrrev_i32_e32 v29, 31, v30
	v_cmp_gt_i64_e64 s[12:13], 0, v[22:23]
	v_not_b32_e32 v30, v23
	v_lshlrev_b32_e32 v23, 26, v3
	v_mul_lo_u32 v28, v3, s16
	v_and_b32_e32 v3, v25, v26
	v_and_b32_e32 v24, v24, v27
	v_xor_b32_e32 v25, s15, v29
	v_xor_b32_e32 v26, s14, v29
	v_ashrrev_i32_e32 v27, 31, v30
	v_cmp_gt_i64_e64 s[14:15], 0, v[22:23]
	v_not_b32_e32 v23, v23
	v_and_b32_e32 v3, v3, v25
	v_and_b32_e32 v24, v24, v26
	v_xor_b32_e32 v25, s13, v27
	v_xor_b32_e32 v26, s12, v27
	v_ashrrev_i32_e32 v23, 31, v23
	v_and_b32_e32 v3, v3, v25
	v_and_b32_e32 v24, v24, v26
	v_xor_b32_e32 v25, s15, v23
	v_xor_b32_e32 v23, s14, v23
	v_and_b32_e32 v24, v24, v23
	v_and_b32_e32 v25, v3, v25
	v_mbcnt_lo_u32_b32 v3, v24, 0
	v_mbcnt_hi_u32_b32 v3, v25, v3
	v_cmp_ne_u64_e64 s[12:13], 0, v[24:25]
	v_cmp_eq_u32_e64 s[14:15], 0, v3
	s_and_b64 s[14:15], s[12:13], s[14:15]
	s_waitcnt lgkmcnt(0)
	s_barrier
	s_waitcnt vmcnt(0)
	; wave barrier
	v_mad_u64_u32 v[26:27], s[18:19], v7, v5, v[8:9]
	v_lshrrev_b32_e32 v32, 6, v26
	v_lshl_add_u32 v7, v32, 2, v28
	s_and_saveexec_b64 s[12:13], s[14:15]
; %bb.14:
	v_bcnt_u32_b32 v5, v24, 0
	v_bcnt_u32_b32 v5, v25, v5
	ds_write_b32 v7, v5 offset:64
; %bb.15:
	s_or_b64 exec, exec, s[12:13]
	v_lshrrev_b64 v[24:25], s44, v[10:11]
	v_and_b32_e32 v27, s33, v24
	v_and_b32_e32 v24, 1, v27
	v_mov_b32_e32 v25, v22
	v_lshl_add_u64 v[28:29], v[24:25], 0, -1
	v_cmp_ne_u32_e64 s[12:13], 0, v24
	v_mul_lo_u32 v5, v27, s16
	v_lshl_add_u32 v26, v32, 2, v5
	v_xor_b32_e32 v23, s13, v29
	v_and_b32_e32 v25, exec_hi, v23
	v_lshlrev_b32_e32 v23, 30, v27
	v_xor_b32_e32 v24, s12, v28
	v_cmp_gt_i64_e64 s[12:13], 0, v[22:23]
	v_not_b32_e32 v23, v23
	v_ashrrev_i32_e32 v23, 31, v23
	v_and_b32_e32 v24, exec_lo, v24
	v_xor_b32_e32 v28, s13, v23
	v_xor_b32_e32 v23, s12, v23
	v_and_b32_e32 v24, v24, v23
	v_lshlrev_b32_e32 v23, 29, v27
	v_cmp_gt_i64_e64 s[12:13], 0, v[22:23]
	v_not_b32_e32 v23, v23
	v_ashrrev_i32_e32 v23, 31, v23
	v_and_b32_e32 v25, v25, v28
	v_xor_b32_e32 v28, s13, v23
	v_xor_b32_e32 v23, s12, v23
	v_and_b32_e32 v24, v24, v23
	v_lshlrev_b32_e32 v23, 28, v27
	v_cmp_gt_i64_e64 s[12:13], 0, v[22:23]
	v_not_b32_e32 v23, v23
	v_ashrrev_i32_e32 v23, 31, v23
	v_and_b32_e32 v25, v25, v28
	v_xor_b32_e32 v28, s13, v23
	v_xor_b32_e32 v23, s12, v23
	v_and_b32_e32 v24, v24, v23
	v_lshlrev_b32_e32 v23, 27, v27
	v_cmp_gt_i64_e64 s[12:13], 0, v[22:23]
	v_not_b32_e32 v23, v23
	v_ashrrev_i32_e32 v23, 31, v23
	v_and_b32_e32 v25, v25, v28
	v_xor_b32_e32 v28, s13, v23
	v_xor_b32_e32 v23, s12, v23
	v_and_b32_e32 v24, v24, v23
	v_lshlrev_b32_e32 v23, 26, v27
	v_cmp_gt_i64_e64 s[12:13], 0, v[22:23]
	v_not_b32_e32 v22, v23
	v_ashrrev_i32_e32 v22, 31, v22
	v_xor_b32_e32 v23, s13, v22
	v_xor_b32_e32 v22, s12, v22
	; wave barrier
	ds_read_b32 v5, v26 offset:64
	v_and_b32_e32 v25, v25, v28
	v_and_b32_e32 v22, v24, v22
	;; [unrolled: 1-line block ×3, first 2 shown]
	v_mbcnt_lo_u32_b32 v24, v22, 0
	v_mbcnt_hi_u32_b32 v27, v23, v24
	v_cmp_eq_u32_e64 s[12:13], 0, v27
	v_cmp_ne_u64_e64 s[14:15], 0, v[22:23]
	s_and_b64 s[14:15], s[14:15], s[12:13]
	; wave barrier
	s_and_saveexec_b64 s[12:13], s[14:15]
	s_cbranch_execz .LBB14_17
; %bb.16:
	v_bcnt_u32_b32 v22, v22, 0
	v_bcnt_u32_b32 v22, v23, v22
	s_waitcnt lgkmcnt(0)
	v_add_u32_e32 v22, v5, v22
	ds_write_b32 v26, v22 offset:64
.LBB14_17:
	s_or_b64 exec, exec, s[12:13]
	v_lshrrev_b64 v[22:23], s44, v[16:17]
	v_and_b32_e32 v30, s33, v22
	v_mul_lo_u32 v22, v30, s16
	v_lshl_add_u32 v29, v32, 2, v22
	v_and_b32_e32 v22, 1, v30
	v_mov_b32_e32 v23, 0
	v_lshl_add_u64 v[24:25], v[22:23], 0, -1
	v_cmp_ne_u32_e64 s[12:13], 0, v22
	; wave barrier
	s_nop 1
	v_xor_b32_e32 v24, s12, v24
	v_xor_b32_e32 v22, s13, v25
	v_and_b32_e32 v31, exec_lo, v24
	v_lshlrev_b32_e32 v25, 30, v30
	v_mov_b32_e32 v24, v23
	v_cmp_gt_i64_e64 s[12:13], 0, v[24:25]
	v_not_b32_e32 v24, v25
	v_ashrrev_i32_e32 v24, 31, v24
	v_and_b32_e32 v22, exec_hi, v22
	v_xor_b32_e32 v25, s13, v24
	v_xor_b32_e32 v24, s12, v24
	v_and_b32_e32 v22, v22, v25
	v_and_b32_e32 v31, v31, v24
	v_lshlrev_b32_e32 v25, 29, v30
	v_mov_b32_e32 v24, v23
	v_cmp_gt_i64_e64 s[12:13], 0, v[24:25]
	v_not_b32_e32 v24, v25
	v_ashrrev_i32_e32 v24, 31, v24
	v_xor_b32_e32 v25, s13, v24
	v_xor_b32_e32 v24, s12, v24
	v_and_b32_e32 v22, v22, v25
	v_and_b32_e32 v31, v31, v24
	v_lshlrev_b32_e32 v25, 28, v30
	v_mov_b32_e32 v24, v23
	v_cmp_gt_i64_e64 s[12:13], 0, v[24:25]
	v_not_b32_e32 v24, v25
	v_ashrrev_i32_e32 v24, 31, v24
	;; [unrolled: 9-line block ×4, first 2 shown]
	v_xor_b32_e32 v25, s13, v24
	v_xor_b32_e32 v24, s12, v24
	ds_read_b32 v28, v29 offset:64
	v_and_b32_e32 v24, v31, v24
	v_and_b32_e32 v25, v22, v25
	v_mbcnt_lo_u32_b32 v22, v24, 0
	v_mbcnt_hi_u32_b32 v30, v25, v22
	v_cmp_eq_u32_e64 s[12:13], 0, v30
	v_cmp_ne_u64_e64 s[14:15], 0, v[24:25]
	s_and_b64 s[14:15], s[14:15], s[12:13]
	; wave barrier
	s_and_saveexec_b64 s[12:13], s[14:15]
	s_cbranch_execz .LBB14_19
; %bb.18:
	v_bcnt_u32_b32 v22, v24, 0
	v_bcnt_u32_b32 v22, v25, v22
	s_waitcnt lgkmcnt(0)
	v_add_u32_e32 v22, v28, v22
	ds_write_b32 v29, v22 offset:64
.LBB14_19:
	s_or_b64 exec, exec, s[12:13]
	v_lshrrev_b64 v[24:25], s44, v[14:15]
	v_and_b32_e32 v34, s33, v24
	v_mul_lo_u32 v22, v34, s16
	v_lshl_add_u32 v33, v32, 2, v22
	v_and_b32_e32 v22, 1, v34
	v_lshl_add_u64 v[24:25], v[22:23], 0, -1
	v_cmp_ne_u32_e64 s[12:13], 0, v22
	; wave barrier
	s_nop 1
	v_xor_b32_e32 v24, s12, v24
	v_xor_b32_e32 v22, s13, v25
	v_and_b32_e32 v35, exec_lo, v24
	v_lshlrev_b32_e32 v25, 30, v34
	v_mov_b32_e32 v24, v23
	v_cmp_gt_i64_e64 s[12:13], 0, v[24:25]
	v_not_b32_e32 v24, v25
	v_ashrrev_i32_e32 v24, 31, v24
	v_and_b32_e32 v22, exec_hi, v22
	v_xor_b32_e32 v25, s13, v24
	v_xor_b32_e32 v24, s12, v24
	v_and_b32_e32 v22, v22, v25
	v_and_b32_e32 v35, v35, v24
	v_lshlrev_b32_e32 v25, 29, v34
	v_mov_b32_e32 v24, v23
	v_cmp_gt_i64_e64 s[12:13], 0, v[24:25]
	v_not_b32_e32 v24, v25
	v_ashrrev_i32_e32 v24, 31, v24
	v_xor_b32_e32 v25, s13, v24
	v_xor_b32_e32 v24, s12, v24
	v_and_b32_e32 v22, v22, v25
	v_and_b32_e32 v35, v35, v24
	v_lshlrev_b32_e32 v25, 28, v34
	v_mov_b32_e32 v24, v23
	v_cmp_gt_i64_e64 s[12:13], 0, v[24:25]
	v_not_b32_e32 v24, v25
	v_ashrrev_i32_e32 v24, 31, v24
	;; [unrolled: 9-line block ×3, first 2 shown]
	v_xor_b32_e32 v25, s13, v24
	v_xor_b32_e32 v24, s12, v24
	v_and_b32_e32 v22, v22, v25
	v_lshlrev_b32_e32 v25, 26, v34
	v_and_b32_e32 v35, v35, v24
	v_mov_b32_e32 v24, v23
	v_not_b32_e32 v23, v25
	v_cmp_gt_i64_e64 s[12:13], 0, v[24:25]
	v_ashrrev_i32_e32 v23, 31, v23
	ds_read_b32 v31, v33 offset:64
	v_xor_b32_e32 v24, s13, v23
	v_xor_b32_e32 v25, s12, v23
	v_and_b32_e32 v23, v22, v24
	v_and_b32_e32 v22, v35, v25
	v_mbcnt_lo_u32_b32 v24, v22, 0
	v_mbcnt_hi_u32_b32 v34, v23, v24
	v_cmp_eq_u32_e64 s[12:13], 0, v34
	v_cmp_ne_u64_e64 s[14:15], 0, v[22:23]
	s_and_b64 s[14:15], s[14:15], s[12:13]
	; wave barrier
	s_and_saveexec_b64 s[12:13], s[14:15]
	s_cbranch_execz .LBB14_21
; %bb.20:
	v_bcnt_u32_b32 v22, v22, 0
	v_bcnt_u32_b32 v22, v23, v22
	s_waitcnt lgkmcnt(0)
	v_add_u32_e32 v22, v31, v22
	ds_write_b32 v33, v22 offset:64
.LBB14_21:
	s_or_b64 exec, exec, s[12:13]
	v_lshrrev_b64 v[22:23], s44, v[20:21]
	v_and_b32_e32 v37, s33, v22
	v_mul_lo_u32 v22, v37, s16
	v_lshl_add_u32 v36, v32, 2, v22
	v_and_b32_e32 v22, 1, v37
	v_mov_b32_e32 v23, 0
	v_lshl_add_u64 v[24:25], v[22:23], 0, -1
	v_cmp_ne_u32_e64 s[12:13], 0, v22
	; wave barrier
	s_nop 1
	v_xor_b32_e32 v24, s12, v24
	v_xor_b32_e32 v22, s13, v25
	v_and_b32_e32 v38, exec_lo, v24
	v_lshlrev_b32_e32 v25, 30, v37
	v_mov_b32_e32 v24, v23
	v_cmp_gt_i64_e64 s[12:13], 0, v[24:25]
	v_not_b32_e32 v24, v25
	v_ashrrev_i32_e32 v24, 31, v24
	v_and_b32_e32 v22, exec_hi, v22
	v_xor_b32_e32 v25, s13, v24
	v_xor_b32_e32 v24, s12, v24
	v_and_b32_e32 v22, v22, v25
	v_and_b32_e32 v38, v38, v24
	v_lshlrev_b32_e32 v25, 29, v37
	v_mov_b32_e32 v24, v23
	v_cmp_gt_i64_e64 s[12:13], 0, v[24:25]
	v_not_b32_e32 v24, v25
	v_ashrrev_i32_e32 v24, 31, v24
	v_xor_b32_e32 v25, s13, v24
	v_xor_b32_e32 v24, s12, v24
	v_and_b32_e32 v22, v22, v25
	v_and_b32_e32 v38, v38, v24
	v_lshlrev_b32_e32 v25, 28, v37
	v_mov_b32_e32 v24, v23
	v_cmp_gt_i64_e64 s[12:13], 0, v[24:25]
	v_not_b32_e32 v24, v25
	v_ashrrev_i32_e32 v24, 31, v24
	;; [unrolled: 9-line block ×4, first 2 shown]
	v_xor_b32_e32 v25, s13, v24
	v_xor_b32_e32 v24, s12, v24
	ds_read_b32 v35, v36 offset:64
	v_and_b32_e32 v24, v38, v24
	v_and_b32_e32 v25, v22, v25
	v_mbcnt_lo_u32_b32 v22, v24, 0
	v_mbcnt_hi_u32_b32 v37, v25, v22
	v_cmp_eq_u32_e64 s[12:13], 0, v37
	v_cmp_ne_u64_e64 s[14:15], 0, v[24:25]
	s_and_b64 s[14:15], s[14:15], s[12:13]
	; wave barrier
	s_and_saveexec_b64 s[12:13], s[14:15]
	s_cbranch_execz .LBB14_23
; %bb.22:
	v_bcnt_u32_b32 v22, v24, 0
	v_bcnt_u32_b32 v22, v25, v22
	s_waitcnt lgkmcnt(0)
	v_add_u32_e32 v22, v35, v22
	ds_write_b32 v36, v22 offset:64
.LBB14_23:
	s_or_b64 exec, exec, s[12:13]
	v_lshrrev_b64 v[24:25], s44, v[18:19]
	v_and_b32_e32 v25, s33, v24
	v_mul_lo_u32 v22, v25, s16
	v_lshl_add_u32 v24, v32, 2, v22
	v_and_b32_e32 v22, 1, v25
	v_lshl_add_u64 v[40:41], v[22:23], 0, -1
	v_cmp_ne_u32_e64 s[12:13], 0, v22
	; wave barrier
	s_nop 1
	v_xor_b32_e32 v22, s13, v41
	v_lshlrev_b32_e32 v41, 30, v25
	v_xor_b32_e32 v32, s12, v40
	v_mov_b32_e32 v40, v23
	v_not_b32_e32 v39, v41
	v_cmp_gt_i64_e64 s[12:13], 0, v[40:41]
	v_ashrrev_i32_e32 v39, 31, v39
	v_and_b32_e32 v22, exec_hi, v22
	v_and_b32_e32 v32, exec_lo, v32
	v_xor_b32_e32 v40, s13, v39
	v_xor_b32_e32 v39, s12, v39
	v_lshlrev_b32_e32 v41, 29, v25
	v_and_b32_e32 v22, v22, v40
	v_and_b32_e32 v32, v32, v39
	v_mov_b32_e32 v40, v23
	v_not_b32_e32 v39, v41
	v_cmp_gt_i64_e64 s[12:13], 0, v[40:41]
	v_ashrrev_i32_e32 v39, 31, v39
	v_lshlrev_b32_e32 v41, 28, v25
	v_xor_b32_e32 v40, s13, v39
	v_xor_b32_e32 v39, s12, v39
	v_and_b32_e32 v22, v22, v40
	v_and_b32_e32 v32, v32, v39
	v_mov_b32_e32 v40, v23
	v_not_b32_e32 v39, v41
	v_cmp_gt_i64_e64 s[12:13], 0, v[40:41]
	v_ashrrev_i32_e32 v39, 31, v39
	v_lshlrev_b32_e32 v41, 27, v25
	v_xor_b32_e32 v40, s13, v39
	v_xor_b32_e32 v39, s12, v39
	v_and_b32_e32 v22, v22, v40
	v_and_b32_e32 v32, v32, v39
	v_mov_b32_e32 v40, v23
	v_not_b32_e32 v39, v41
	v_cmp_gt_i64_e64 s[12:13], 0, v[40:41]
	v_ashrrev_i32_e32 v39, 31, v39
	v_lshlrev_b32_e32 v41, 26, v25
	v_xor_b32_e32 v40, s13, v39
	v_and_b32_e32 v22, v22, v40
	v_mov_b32_e32 v40, v23
	v_not_b32_e32 v23, v41
	v_xor_b32_e32 v39, s12, v39
	v_cmp_gt_i64_e64 s[12:13], 0, v[40:41]
	v_ashrrev_i32_e32 v23, 31, v23
	v_and_b32_e32 v32, v32, v39
	v_xor_b32_e32 v25, s13, v23
	v_xor_b32_e32 v39, s12, v23
	ds_read_b32 v38, v24 offset:64
	v_and_b32_e32 v23, v22, v25
	v_and_b32_e32 v22, v32, v39
	v_mbcnt_lo_u32_b32 v25, v22, 0
	v_mbcnt_hi_u32_b32 v39, v23, v25
	v_cmp_eq_u32_e64 s[12:13], 0, v39
	v_cmp_ne_u64_e64 s[14:15], 0, v[22:23]
	s_and_b64 s[14:15], s[14:15], s[12:13]
	; wave barrier
	s_and_saveexec_b64 s[12:13], s[14:15]
	s_cbranch_execz .LBB14_25
; %bb.24:
	v_bcnt_u32_b32 v22, v22, 0
	v_bcnt_u32_b32 v22, v23, v22
	s_waitcnt lgkmcnt(0)
	v_add_u32_e32 v22, v38, v22
	ds_write_b32 v24, v22 offset:64
.LBB14_25:
	s_or_b64 exec, exec, s[12:13]
	; wave barrier
	s_waitcnt lgkmcnt(0)
	s_barrier
	ds_read_b64 v[22:23], v2 offset:64
	v_and_b32_e32 v25, 15, v9
	v_cmp_eq_u32_e64 s[12:13], 0, v25
	v_cmp_lt_u32_e64 s[14:15], 1, v25
	v_cmp_lt_u32_e64 s[16:17], 3, v25
	s_waitcnt lgkmcnt(0)
	v_add_u32_e32 v23, v23, v22
	v_cmp_lt_u32_e64 s[18:19], 7, v25
	v_cmp_lt_u32_e64 s[20:21], 31, v9
	v_mov_b32_dpp v32, v23 row_shr:1 row_mask:0xf bank_mask:0xf
	v_cndmask_b32_e64 v32, v32, 0, s[12:13]
	v_add_u32_e32 v23, v32, v23
	s_nop 1
	v_mov_b32_dpp v32, v23 row_shr:2 row_mask:0xf bank_mask:0xf
	v_cndmask_b32_e64 v32, 0, v32, s[14:15]
	v_add_u32_e32 v23, v23, v32
	s_nop 1
	;; [unrolled: 4-line block ×3, first 2 shown]
	v_mov_b32_dpp v32, v23 row_shr:8 row_mask:0xf bank_mask:0xf
	v_cndmask_b32_e64 v25, 0, v32, s[18:19]
	v_add_u32_e32 v23, v23, v25
	v_bfe_i32 v32, v9, 4, 1
	s_nop 0
	v_mov_b32_dpp v25, v23 row_bcast:15 row_mask:0xf bank_mask:0xf
	v_and_b32_e32 v25, v32, v25
	v_add_u32_e32 v23, v23, v25
	v_and_b32_e32 v32, 63, v8
	s_nop 0
	v_mov_b32_dpp v25, v23 row_bcast:31 row_mask:0xf bank_mask:0xf
	v_cndmask_b32_e64 v25, 0, v25, s[20:21]
	v_add_u32_e32 v23, v23, v25
	v_lshrrev_b32_e32 v25, 6, v8
	v_cmp_eq_u32_e64 s[20:21], 63, v32
	s_and_saveexec_b64 s[22:23], s[20:21]
; %bb.26:
	v_lshlrev_b32_e32 v32, 2, v25
	ds_write_b32 v32, v23
; %bb.27:
	s_or_b64 exec, exec, s[22:23]
	v_cmp_gt_u32_e64 s[20:21], 16, v8
	s_waitcnt lgkmcnt(0)
	s_barrier
	s_and_saveexec_b64 s[22:23], s[20:21]
	s_cbranch_execz .LBB14_29
; %bb.28:
	v_lshlrev_b32_e32 v32, 2, v8
	ds_read_b32 v40, v32
	s_waitcnt lgkmcnt(0)
	s_nop 0
	v_mov_b32_dpp v41, v40 row_shr:1 row_mask:0xf bank_mask:0xf
	v_cndmask_b32_e64 v41, v41, 0, s[12:13]
	v_add_u32_e32 v40, v41, v40
	s_nop 1
	v_mov_b32_dpp v41, v40 row_shr:2 row_mask:0xf bank_mask:0xf
	v_cndmask_b32_e64 v41, 0, v41, s[14:15]
	v_add_u32_e32 v40, v40, v41
	;; [unrolled: 4-line block ×4, first 2 shown]
	ds_write_b32 v32, v40
.LBB14_29:
	s_or_b64 exec, exec, s[22:23]
	v_cmp_gt_u32_e64 s[14:15], 64, v8
	v_cmp_lt_u32_e64 s[12:13], 63, v8
	v_mov_b32_e32 v32, 0
	s_waitcnt lgkmcnt(0)
	s_barrier
	s_and_saveexec_b64 s[16:17], s[12:13]
; %bb.30:
	v_lshl_add_u32 v25, v25, 2, -4
	ds_read_b32 v32, v25
; %bb.31:
	s_or_b64 exec, exec, s[16:17]
	v_add_u32_e32 v25, -1, v9
	v_and_b32_e32 v40, 64, v9
	v_cmp_lt_i32_e64 s[16:17], v25, v40
	s_waitcnt lgkmcnt(0)
	v_add_u32_e32 v23, v32, v23
	v_cndmask_b32_e64 v25, v25, v9, s[16:17]
	v_lshlrev_b32_e32 v25, 2, v25
	ds_bpermute_b32 v23, v25, v23
	v_cmp_eq_u32_e64 s[16:17], 0, v9
	s_waitcnt lgkmcnt(0)
	s_nop 0
	v_cndmask_b32_e64 v9, v23, v32, s[16:17]
	v_cmp_ne_u32_e64 s[16:17], 0, v8
	s_nop 1
	v_cndmask_b32_e64 v40, 0, v9, s[16:17]
	v_add_u32_e32 v41, v40, v22
	ds_write_b64 v2, v[40:41] offset:64
	s_waitcnt lgkmcnt(0)
	s_barrier
	ds_read_b32 v25, v7 offset:64
	ds_read_b32 v32, v26 offset:64
	;; [unrolled: 1-line block ×6, first 2 shown]
	v_mov_b64_e32 v[22:23], 0
                                        ; implicit-def: $vgpr24
	s_and_saveexec_b64 s[18:19], s[14:15]
	s_cbranch_execz .LBB14_35
; %bb.32:
	v_mul_u32_u24_e32 v22, 0x44, v8
	ds_read_b32 v22, v22 offset:64
	v_add_u32_e32 v24, 1, v8
	v_cmp_ne_u32_e64 s[16:17], 64, v24
	v_mov_b32_e32 v23, 0x1800
	s_and_saveexec_b64 s[20:21], s[16:17]
; %bb.33:
	v_mul_u32_u24_e32 v23, 0x44, v24
	ds_read_b32 v23, v23 offset:64
; %bb.34:
	s_or_b64 exec, exec, s[20:21]
	s_waitcnt lgkmcnt(0)
	v_sub_u32_e32 v24, v23, v22
	v_mov_b32_e32 v23, 0
.LBB14_35:
	s_or_b64 exec, exec, s[18:19]
	v_lshlrev_b32_e32 v3, 3, v3
	s_waitcnt lgkmcnt(5)
	v_lshl_add_u32 v25, v25, 3, v3
	s_waitcnt lgkmcnt(0)
	s_barrier
	ds_write_b64 v25, v[12:13] offset:512
	v_lshlrev_b32_e32 v3, 3, v32
	v_lshlrev_b32_e32 v12, 3, v27
	;; [unrolled: 1-line block ×3, first 2 shown]
	v_add3_u32 v32, v3, v12, v5
	ds_write_b64 v32, v[10:11] offset:512
	v_lshlrev_b32_e32 v3, 3, v29
	v_lshlrev_b32_e32 v5, 3, v30
	v_lshlrev_b32_e32 v10, 3, v28
	v_add3_u32 v33, v3, v5, v10
	v_lshlrev_b32_e32 v3, 3, v26
	v_lshlrev_b32_e32 v5, 3, v34
	v_lshlrev_b32_e32 v10, 3, v31
	v_add3_u32 v34, v3, v5, v10
	;; [unrolled: 4-line block ×4, first 2 shown]
	v_mov_b32_e32 v11, 0
	ds_write_b64 v33, v[16:17] offset:512
	ds_write_b64 v34, v[14:15] offset:512
	;; [unrolled: 1-line block ×4, first 2 shown]
	s_waitcnt lgkmcnt(0)
	s_barrier
	s_and_saveexec_b64 s[16:17], s[14:15]
	s_cbranch_execz .LBB14_45
; %bb.36:
	v_lshl_add_u32 v10, s2, 6, v8
	v_lshl_add_u64 v[12:13], v[10:11], 2, s[34:35]
	v_or_b32_e32 v3, 2.0, v24
	global_store_dword v[12:13], v3, off sc1
	s_mov_b64 s[18:19], 0
	s_brev_b32 s24, -4
	s_mov_b32 s25, s2
	v_mov_b32_e32 v3, 0
                                        ; implicit-def: $sgpr14_sgpr15
	s_branch .LBB14_39
.LBB14_37:                              ;   in Loop: Header=BB14_39 Depth=1
	s_or_b64 exec, exec, s[22:23]
.LBB14_38:                              ;   in Loop: Header=BB14_39 Depth=1
	s_or_b64 exec, exec, s[20:21]
	v_and_b32_e32 v7, 0x3fffffff, v5
	v_add_u32_e32 v3, v7, v3
	v_cmp_gt_i32_e64 s[14:15], -2.0, v5
	s_and_b64 s[20:21], exec, s[14:15]
	s_or_b64 s[18:19], s[20:21], s[18:19]
	s_andn2_b64 exec, exec, s[18:19]
	s_cbranch_execz .LBB14_44
.LBB14_39:                              ; =>This Loop Header: Depth=1
                                        ;     Child Loop BB14_42 Depth 2
	s_or_b64 s[14:15], s[14:15], exec
	s_cmp_eq_u32 s25, 0
	s_cbranch_scc1 .LBB14_43
; %bb.40:                               ;   in Loop: Header=BB14_39 Depth=1
	s_add_i32 s25, s25, -1
	v_lshl_or_b32 v10, s25, 6, v8
	v_lshl_add_u64 v[14:15], v[10:11], 2, s[34:35]
	global_load_dword v5, v[14:15], off sc1
	s_waitcnt vmcnt(0)
	v_cmp_gt_u32_e64 s[14:15], 2.0, v5
	s_and_saveexec_b64 s[20:21], s[14:15]
	s_cbranch_execz .LBB14_38
; %bb.41:                               ;   in Loop: Header=BB14_39 Depth=1
	s_mov_b64 s[22:23], 0
.LBB14_42:                              ;   Parent Loop BB14_39 Depth=1
                                        ; =>  This Inner Loop Header: Depth=2
	global_load_dword v5, v[14:15], off sc1
	s_waitcnt vmcnt(0)
	v_cmp_lt_u32_e64 s[14:15], s24, v5
	s_or_b64 s[22:23], s[14:15], s[22:23]
	s_andn2_b64 exec, exec, s[22:23]
	s_cbranch_execnz .LBB14_42
	s_branch .LBB14_37
.LBB14_43:                              ;   in Loop: Header=BB14_39 Depth=1
                                        ; implicit-def: $sgpr25
	s_and_b64 s[20:21], exec, s[14:15]
	s_or_b64 s[18:19], s[20:21], s[18:19]
	s_andn2_b64 exec, exec, s[18:19]
	s_cbranch_execnz .LBB14_39
.LBB14_44:
	s_or_b64 exec, exec, s[18:19]
	v_add_u32_e32 v5, v3, v24
	v_or_b32_e32 v5, 0x80000000, v5
	global_store_dword v[12:13], v5, off sc1
	global_load_dwordx2 v[10:11], v2, s[28:29]
	v_sub_co_u32_e64 v12, s[14:15], v3, v22
	s_nop 1
	v_subb_co_u32_e64 v13, s[14:15], 0, v23, s[14:15]
	s_waitcnt vmcnt(0)
	v_lshl_add_u64 v[10:11], v[12:13], 0, v[10:11]
	ds_write_b64 v2, v[10:11]
.LBB14_45:
	s_or_b64 exec, exec, s[16:17]
	v_cmp_gt_u32_e64 s[14:15], s49, v8
	s_waitcnt lgkmcnt(0)
	s_barrier
	s_and_saveexec_b64 s[16:17], s[14:15]
	s_cbranch_execz .LBB14_47
; %bb.46:
	ds_read_b64 v[10:11], v2 offset:512
	s_waitcnt lgkmcnt(0)
	v_lshrrev_b64 v[12:13], s44, v[10:11]
	v_and_b32_e32 v3, s33, v12
	v_lshlrev_b32_e32 v3, 3, v3
	ds_read_b64 v[12:13], v3
	v_mov_b32_e32 v3, 0
	v_not_b32_e32 v11, v11
	v_not_b32_e32 v10, v10
	s_waitcnt lgkmcnt(0)
	v_lshl_add_u64 v[12:13], v[12:13], 3, s[38:39]
	v_lshl_add_u64 v[12:13], v[12:13], 0, v[2:3]
	global_store_dwordx2 v[12:13], v[10:11], off
.LBB14_47:
	s_or_b64 exec, exec, s[16:17]
	v_or_b32_e32 v3, 0x400, v8
	v_cmp_gt_u32_e64 s[16:17], s49, v3
	v_lshlrev_b32_e32 v10, 3, v3
	s_and_saveexec_b64 s[18:19], s[16:17]
	s_cbranch_execz .LBB14_49
; %bb.48:
	ds_read_b64 v[12:13], v2 offset:8704
	v_mov_b32_e32 v11, 0
	s_waitcnt lgkmcnt(0)
	v_lshrrev_b64 v[14:15], s44, v[12:13]
	v_and_b32_e32 v3, s33, v14
	v_lshlrev_b32_e32 v3, 3, v3
	ds_read_b64 v[14:15], v3
	v_not_b32_e32 v13, v13
	v_not_b32_e32 v12, v12
	s_waitcnt lgkmcnt(0)
	v_lshl_add_u64 v[14:15], v[14:15], 3, s[38:39]
	v_lshl_add_u64 v[14:15], v[14:15], 0, v[10:11]
	global_store_dwordx2 v[14:15], v[12:13], off
.LBB14_49:
	s_or_b64 exec, exec, s[18:19]
	v_or_b32_e32 v3, 0x800, v8
	v_cmp_gt_u32_e64 s[18:19], s49, v3
	v_lshlrev_b32_e32 v12, 3, v3
	s_and_saveexec_b64 s[20:21], s[18:19]
	s_cbranch_execz .LBB14_51
; %bb.50:
	ds_read_b64 v[14:15], v2 offset:16896
	v_mov_b32_e32 v13, 0
	s_waitcnt lgkmcnt(0)
	v_lshrrev_b64 v[16:17], s44, v[14:15]
	v_and_b32_e32 v3, s33, v16
	v_lshlrev_b32_e32 v3, 3, v3
	ds_read_b64 v[16:17], v3
	v_not_b32_e32 v15, v15
	v_not_b32_e32 v14, v14
	s_waitcnt lgkmcnt(0)
	v_lshl_add_u64 v[16:17], v[16:17], 3, s[38:39]
	v_lshl_add_u64 v[16:17], v[16:17], 0, v[12:13]
	global_store_dwordx2 v[16:17], v[14:15], off
.LBB14_51:
	;; [unrolled: 21-line block ×5, first 2 shown]
	s_or_b64 exec, exec, s[50:51]
	s_add_u32 s46, s40, s46
	s_addc_u32 s47, s41, s47
	v_mov_b32_e32 v5, 0
	v_lshl_add_u64 v[18:19], s[46:47], 0, v[4:5]
	v_mov_b32_e32 v7, v5
	v_lshl_add_u64 v[30:31], v[18:19], 0, v[6:7]
                                        ; implicit-def: $vgpr4_vgpr5
	s_and_saveexec_b64 s[46:47], vcc
	s_xor_b64 s[46:47], exec, s[46:47]
	s_cbranch_execz .LBB14_63
; %bb.58:
	global_load_dwordx2 v[4:5], v[30:31], off
	s_or_b64 exec, exec, s[46:47]
                                        ; implicit-def: $vgpr6_vgpr7
	s_and_saveexec_b64 s[46:47], s[26:27]
	s_cbranch_execnz .LBB14_64
.LBB14_59:
	s_or_b64 exec, exec, s[46:47]
                                        ; implicit-def: $vgpr18_vgpr19
	s_and_saveexec_b64 s[26:27], s[4:5]
	s_cbranch_execz .LBB14_65
.LBB14_60:
	global_load_dwordx2 v[18:19], v[30:31], off offset:1024
	s_or_b64 exec, exec, s[26:27]
                                        ; implicit-def: $vgpr20_vgpr21
	s_and_saveexec_b64 s[4:5], s[6:7]
	s_cbranch_execnz .LBB14_66
.LBB14_61:
	s_or_b64 exec, exec, s[4:5]
                                        ; implicit-def: $vgpr26_vgpr27
	s_and_saveexec_b64 s[4:5], s[8:9]
	s_cbranch_execz .LBB14_67
.LBB14_62:
	global_load_dwordx2 v[26:27], v[30:31], off offset:2048
	s_or_b64 exec, exec, s[4:5]
                                        ; implicit-def: $vgpr28_vgpr29
	s_and_saveexec_b64 s[4:5], s[10:11]
	s_cbranch_execnz .LBB14_68
	s_branch .LBB14_69
.LBB14_63:
	s_or_b64 exec, exec, s[46:47]
                                        ; implicit-def: $vgpr6_vgpr7
	s_and_saveexec_b64 s[46:47], s[26:27]
	s_cbranch_execz .LBB14_59
.LBB14_64:
	global_load_dwordx2 v[6:7], v[30:31], off offset:512
	s_or_b64 exec, exec, s[46:47]
                                        ; implicit-def: $vgpr18_vgpr19
	s_and_saveexec_b64 s[26:27], s[4:5]
	s_cbranch_execnz .LBB14_60
.LBB14_65:
	s_or_b64 exec, exec, s[26:27]
                                        ; implicit-def: $vgpr20_vgpr21
	s_and_saveexec_b64 s[4:5], s[6:7]
	s_cbranch_execz .LBB14_61
.LBB14_66:
	global_load_dwordx2 v[20:21], v[30:31], off offset:1536
	s_or_b64 exec, exec, s[4:5]
                                        ; implicit-def: $vgpr26_vgpr27
	s_and_saveexec_b64 s[4:5], s[8:9]
	s_cbranch_execnz .LBB14_62
.LBB14_67:
	s_or_b64 exec, exec, s[4:5]
                                        ; implicit-def: $vgpr28_vgpr29
	s_and_saveexec_b64 s[4:5], s[10:11]
	s_cbranch_execz .LBB14_69
.LBB14_68:
	global_load_dwordx2 v[28:29], v[30:31], off offset:2560
.LBB14_69:
	s_or_b64 exec, exec, s[4:5]
	v_mov_b32_e32 v11, 0
	v_mov_b32_e32 v3, 0
	s_and_saveexec_b64 s[4:5], s[14:15]
	s_cbranch_execz .LBB14_71
; %bb.70:
	ds_read_b64 v[30:31], v2 offset:512
	s_waitcnt lgkmcnt(0)
	v_lshrrev_b64 v[30:31], s44, v[30:31]
	v_and_b32_e32 v3, s33, v30
.LBB14_71:
	s_or_b64 exec, exec, s[4:5]
	s_and_saveexec_b64 s[4:5], s[16:17]
	s_cbranch_execz .LBB14_73
; %bb.72:
	ds_read_b64 v[30:31], v2 offset:8704
	s_waitcnt lgkmcnt(0)
	v_lshrrev_b64 v[30:31], s44, v[30:31]
	v_and_b32_e32 v11, s33, v30
.LBB14_73:
	s_or_b64 exec, exec, s[4:5]
	v_mov_b32_e32 v15, 0
	v_mov_b32_e32 v13, 0
	s_and_saveexec_b64 s[4:5], s[18:19]
	s_cbranch_execz .LBB14_75
; %bb.74:
	ds_read_b64 v[30:31], v2 offset:16896
	s_waitcnt lgkmcnt(0)
	v_lshrrev_b64 v[30:31], s44, v[30:31]
	v_and_b32_e32 v13, s33, v30
.LBB14_75:
	s_or_b64 exec, exec, s[4:5]
	s_and_saveexec_b64 s[4:5], s[20:21]
	s_cbranch_execz .LBB14_77
; %bb.76:
	ds_read_b64 v[30:31], v2 offset:25088
	s_waitcnt lgkmcnt(0)
	v_lshrrev_b64 v[30:31], s44, v[30:31]
	v_and_b32_e32 v15, s33, v30
.LBB14_77:
	;; [unrolled: 20-line block ×3, first 2 shown]
	s_or_b64 exec, exec, s[4:5]
	s_barrier
	s_waitcnt vmcnt(0)
	ds_write_b64 v25, v[4:5] offset:512
	ds_write_b64 v32, v[6:7] offset:512
	;; [unrolled: 1-line block ×6, first 2 shown]
	s_waitcnt lgkmcnt(0)
	s_barrier
	s_and_saveexec_b64 s[4:5], s[14:15]
	s_cbranch_execz .LBB14_87
; %bb.82:
	v_lshlrev_b32_e32 v3, 3, v3
	ds_read_b64 v[4:5], v3
	ds_read_b64 v[6:7], v2 offset:512
	v_mov_b32_e32 v3, 0
	s_waitcnt lgkmcnt(1)
	v_lshl_add_u64 v[4:5], v[4:5], 3, s[42:43]
	v_lshl_add_u64 v[4:5], v[4:5], 0, v[2:3]
	s_waitcnt lgkmcnt(0)
	global_store_dwordx2 v[4:5], v[6:7], off
	s_or_b64 exec, exec, s[4:5]
	s_and_saveexec_b64 s[4:5], s[16:17]
	s_cbranch_execnz .LBB14_88
.LBB14_83:
	s_or_b64 exec, exec, s[4:5]
	s_and_saveexec_b64 s[4:5], s[18:19]
	s_cbranch_execz .LBB14_89
.LBB14_84:
	v_lshlrev_b32_e32 v3, 3, v13
	ds_read_b64 v[4:5], v3
	ds_read_b64 v[6:7], v2 offset:16896
	v_mov_b32_e32 v13, 0
	s_waitcnt lgkmcnt(1)
	v_lshl_add_u64 v[4:5], v[4:5], 3, s[42:43]
	v_lshl_add_u64 v[4:5], v[4:5], 0, v[12:13]
	s_waitcnt lgkmcnt(0)
	global_store_dwordx2 v[4:5], v[6:7], off
	s_or_b64 exec, exec, s[4:5]
	s_and_saveexec_b64 s[4:5], s[20:21]
	s_cbranch_execnz .LBB14_90
.LBB14_85:
	s_or_b64 exec, exec, s[4:5]
	s_and_saveexec_b64 s[4:5], s[22:23]
	s_cbranch_execz .LBB14_91
.LBB14_86:
	v_lshlrev_b32_e32 v3, 3, v17
	ds_read_b64 v[4:5], v3
	ds_read_b64 v[6:7], v2 offset:33280
	v_mov_b32_e32 v17, 0
	s_waitcnt lgkmcnt(1)
	v_lshl_add_u64 v[4:5], v[4:5], 3, s[42:43]
	v_lshl_add_u64 v[4:5], v[4:5], 0, v[16:17]
	s_waitcnt lgkmcnt(0)
	global_store_dwordx2 v[4:5], v[6:7], off
	s_or_b64 exec, exec, s[4:5]
	s_and_saveexec_b64 s[4:5], s[24:25]
	s_cbranch_execnz .LBB14_92
	s_branch .LBB14_93
.LBB14_87:
	s_or_b64 exec, exec, s[4:5]
	s_and_saveexec_b64 s[4:5], s[16:17]
	s_cbranch_execz .LBB14_83
.LBB14_88:
	v_lshlrev_b32_e32 v3, 3, v11
	ds_read_b64 v[4:5], v3
	ds_read_b64 v[6:7], v2 offset:8704
	v_mov_b32_e32 v11, 0
	s_waitcnt lgkmcnt(1)
	v_lshl_add_u64 v[4:5], v[4:5], 3, s[42:43]
	v_lshl_add_u64 v[4:5], v[4:5], 0, v[10:11]
	s_waitcnt lgkmcnt(0)
	global_store_dwordx2 v[4:5], v[6:7], off
	s_or_b64 exec, exec, s[4:5]
	s_and_saveexec_b64 s[4:5], s[18:19]
	s_cbranch_execnz .LBB14_84
.LBB14_89:
	s_or_b64 exec, exec, s[4:5]
	s_and_saveexec_b64 s[4:5], s[20:21]
	s_cbranch_execz .LBB14_85
.LBB14_90:
	v_lshlrev_b32_e32 v3, 3, v15
	ds_read_b64 v[4:5], v3
	ds_read_b64 v[6:7], v2 offset:25088
	v_mov_b32_e32 v15, 0
	s_waitcnt lgkmcnt(1)
	v_lshl_add_u64 v[4:5], v[4:5], 3, s[42:43]
	v_lshl_add_u64 v[4:5], v[4:5], 0, v[14:15]
	s_waitcnt lgkmcnt(0)
	global_store_dwordx2 v[4:5], v[6:7], off
	s_or_b64 exec, exec, s[4:5]
	s_and_saveexec_b64 s[4:5], s[22:23]
	s_cbranch_execnz .LBB14_86
.LBB14_91:
	s_or_b64 exec, exec, s[4:5]
	s_and_saveexec_b64 s[4:5], s[24:25]
	s_cbranch_execz .LBB14_93
.LBB14_92:
	v_lshlrev_b32_e32 v3, 3, v9
	ds_read_b64 v[4:5], v3
	ds_read_b64 v[6:7], v2 offset:41472
	v_mov_b32_e32 v9, 0
	s_waitcnt lgkmcnt(1)
	v_lshl_add_u64 v[4:5], v[4:5], 3, s[42:43]
	v_lshl_add_u64 v[4:5], v[4:5], 0, v[8:9]
	s_waitcnt lgkmcnt(0)
	global_store_dwordx2 v[4:5], v[6:7], off
.LBB14_93:
	s_or_b64 exec, exec, s[4:5]
	s_add_i32 s3, s3, -1
	s_cmp_eq_u32 s2, s3
	s_cselect_b64 s[4:5], -1, 0
	s_xor_b64 s[6:7], s[12:13], -1
	s_and_b64 s[6:7], s[6:7], s[4:5]
	s_and_saveexec_b64 s[4:5], s[6:7]
	s_cbranch_execz .LBB14_95
; %bb.94:
	ds_read_b64 v[4:5], v2
	v_mov_b32_e32 v25, 0
	v_lshl_add_u64 v[6:7], v[22:23], 0, v[24:25]
	s_waitcnt lgkmcnt(0)
	v_lshl_add_u64 v[4:5], v[6:7], 0, v[4:5]
	global_store_dwordx2 v2, v[4:5], s[30:31]
.LBB14_95:
	s_or_b64 exec, exec, s[4:5]
	s_mov_b64 s[4:5], 0
.LBB14_96:
	s_and_b64 vcc, exec, s[4:5]
	s_cbranch_vccz .LBB14_131
; %bb.97:
	s_mov_b32 s49, 0
	s_lshl_b64 s[10:11], s[48:49], 3
	s_add_u32 s4, s36, s10
	v_mbcnt_hi_u32_b32 v1, -1, v1
	v_and_b32_e32 v2, 0x3c0, v0
	v_mov_b32_e32 v13, 0
	s_addc_u32 s5, s37, s11
	v_mul_u32_u24_e32 v4, 6, v2
	v_lshlrev_b32_e32 v2, 3, v1
	v_mov_b32_e32 v3, v13
	v_lshl_add_u64 v[6:7], s[4:5], 0, v[2:3]
	v_lshlrev_b32_e32 v4, 3, v4
	v_mov_b32_e32 v5, v13
	v_lshl_add_u64 v[8:9], v[6:7], 0, v[4:5]
	global_load_dwordx2 v[22:23], v[8:9], off
	s_load_dword s4, s[0:1], 0x5c
	s_load_dword s3, s[0:1], 0x50
	s_add_u32 s0, s0, 0x50
	s_addc_u32 s1, s1, 0
	v_and_b32_e32 v6, 0x3ff, v0
	s_waitcnt lgkmcnt(0)
	s_lshr_b32 s4, s4, 16
	s_cmp_lt_u32 s2, s3
	s_cselect_b32 s5, 12, 18
	s_add_u32 s0, s0, s5
	s_addc_u32 s1, s1, 0
	global_load_ushort v3, v13, s[0:1]
	global_load_dwordx2 v[10:11], v[8:9], off offset:512
	global_load_dwordx2 v[20:21], v[8:9], off offset:1024
	;; [unrolled: 1-line block ×5, first 2 shown]
	v_bfe_u32 v5, v0, 10, 10
	v_bfe_u32 v7, v0, 20, 10
	s_lshl_b32 s0, -1, s45
	v_lshlrev_b32_e32 v0, 3, v6
	v_mov_b32_e32 v12, v13
	v_mad_u32_u24 v5, v7, s4, v5
	ds_write_b64 v0, v[12:13] offset:64
	v_mov_b32_e32 v24, v13
	s_not_b32 s14, s0
	s_movk_i32 s12, 0x44
	v_mov_b32_e32 v26, v13
	v_mov_b32_e32 v28, v13
	;; [unrolled: 1-line block ×4, first 2 shown]
	s_waitcnt lgkmcnt(0)
	s_barrier
	s_waitcnt vmcnt(6)
	; wave barrier
	v_not_b32_e32 v9, v23
	v_not_b32_e32 v8, v22
	v_lshrrev_b64 v[22:23], s44, v[8:9]
	v_bitop3_b32 v7, v22, s0, v22 bitop3:0x30
	v_and_b32_e32 v12, 1, v7
	v_lshlrev_b32_e32 v25, 30, v7
	v_lshlrev_b32_e32 v27, 29, v7
	v_lshl_add_u64 v[34:35], v[12:13], 0, -1
	v_cmp_ne_u32_e32 vcc, 0, v12
	v_lshlrev_b32_e32 v29, 28, v7
	s_waitcnt vmcnt(5)
	v_mad_u64_u32 v[22:23], s[0:1], v5, v3, v[6:7]
	v_not_b32_e32 v3, v25
	v_cmp_gt_i64_e64 s[0:1], 0, v[24:25]
	v_not_b32_e32 v5, v27
	v_xor_b32_e32 v23, vcc_lo, v34
	v_ashrrev_i32_e32 v3, 31, v3
	v_mul_lo_u32 v36, v7, s12
	v_lshlrev_b32_e32 v31, 27, v7
	v_lshlrev_b32_e32 v33, 26, v7
	v_cmp_gt_i64_e64 s[4:5], 0, v[26:27]
	v_not_b32_e32 v7, v29
	v_ashrrev_i32_e32 v24, 31, v5
	v_and_b32_e32 v23, exec_lo, v23
	v_xor_b32_e32 v25, s1, v3
	v_xor_b32_e32 v3, s0, v3
	v_cmp_gt_i64_e64 s[6:7], 0, v[28:29]
	v_cmp_gt_i64_e64 s[8:9], 0, v[30:31]
	v_not_b32_e32 v12, v31
	v_lshrrev_b32_e32 v30, 6, v22
	v_xor_b32_e32 v22, vcc_hi, v35
	v_ashrrev_i32_e32 v7, 31, v7
	v_xor_b32_e32 v26, s5, v24
	v_xor_b32_e32 v24, s4, v24
	v_and_b32_e32 v3, v23, v3
	v_ashrrev_i32_e32 v12, 31, v12
	v_and_b32_e32 v22, exec_hi, v22
	v_xor_b32_e32 v27, s7, v7
	v_xor_b32_e32 v7, s6, v7
	v_and_b32_e32 v3, v3, v24
	v_xor_b32_e32 v28, s9, v12
	v_xor_b32_e32 v12, s8, v12
	v_and_b32_e32 v22, v22, v25
	v_and_b32_e32 v3, v3, v7
	;; [unrolled: 1-line block ×4, first 2 shown]
	v_not_b32_e32 v12, v33
	v_and_b32_e32 v22, v22, v27
	v_cmp_gt_i64_e32 vcc, 0, v[32:33]
	v_ashrrev_i32_e32 v12, 31, v12
	v_and_b32_e32 v7, v22, v28
	v_xor_b32_e32 v22, vcc_hi, v12
	v_xor_b32_e32 v12, vcc_lo, v12
	v_and_b32_e32 v23, v7, v22
	v_and_b32_e32 v22, v3, v12
	v_mbcnt_lo_u32_b32 v3, v22, 0
	v_mbcnt_hi_u32_b32 v3, v23, v3
	v_cmp_eq_u32_e32 vcc, 0, v3
	v_cmp_ne_u64_e64 s[0:1], 0, v[22:23]
	v_lshl_add_u32 v5, v30, 2, v36
	s_and_b64 s[4:5], s[0:1], vcc
	s_and_saveexec_b64 s[0:1], s[4:5]
; %bb.98:
	v_bcnt_u32_b32 v7, v22, 0
	v_bcnt_u32_b32 v7, v23, v7
	ds_write_b32 v5, v7 offset:64
; %bb.99:
	s_or_b64 exec, exec, s[0:1]
	s_waitcnt vmcnt(4)
	v_not_b32_e32 v11, v11
	v_not_b32_e32 v10, v10
	v_lshrrev_b64 v[22:23], s44, v[10:11]
	v_and_b32_e32 v25, s14, v22
	v_and_b32_e32 v12, 1, v25
	v_lshl_add_u64 v[22:23], v[12:13], 0, -1
	v_cmp_ne_u32_e32 vcc, 0, v12
	v_mul_lo_u32 v7, v25, s12
	v_lshl_add_u32 v24, v30, 2, v7
	v_xor_b32_e32 v22, vcc_lo, v22
	v_xor_b32_e32 v12, vcc_hi, v23
	v_and_b32_e32 v26, exec_lo, v22
	v_lshlrev_b32_e32 v23, 30, v25
	v_mov_b32_e32 v22, v13
	v_cmp_gt_i64_e32 vcc, 0, v[22:23]
	v_not_b32_e32 v22, v23
	v_ashrrev_i32_e32 v22, 31, v22
	v_and_b32_e32 v12, exec_hi, v12
	v_xor_b32_e32 v23, vcc_hi, v22
	v_xor_b32_e32 v22, vcc_lo, v22
	v_and_b32_e32 v12, v12, v23
	v_and_b32_e32 v26, v26, v22
	v_lshlrev_b32_e32 v23, 29, v25
	v_mov_b32_e32 v22, v13
	v_cmp_gt_i64_e32 vcc, 0, v[22:23]
	v_not_b32_e32 v22, v23
	v_ashrrev_i32_e32 v22, 31, v22
	v_xor_b32_e32 v23, vcc_hi, v22
	v_xor_b32_e32 v22, vcc_lo, v22
	v_and_b32_e32 v12, v12, v23
	v_and_b32_e32 v26, v26, v22
	v_lshlrev_b32_e32 v23, 28, v25
	v_mov_b32_e32 v22, v13
	v_cmp_gt_i64_e32 vcc, 0, v[22:23]
	v_not_b32_e32 v22, v23
	v_ashrrev_i32_e32 v22, 31, v22
	;; [unrolled: 9-line block ×3, first 2 shown]
	v_xor_b32_e32 v23, vcc_hi, v22
	v_xor_b32_e32 v22, vcc_lo, v22
	v_and_b32_e32 v12, v12, v23
	v_lshlrev_b32_e32 v23, 26, v25
	v_and_b32_e32 v26, v26, v22
	v_mov_b32_e32 v22, v13
	v_not_b32_e32 v13, v23
	v_cmp_gt_i64_e32 vcc, 0, v[22:23]
	v_ashrrev_i32_e32 v13, 31, v13
	s_nop 0
	v_xor_b32_e32 v22, vcc_hi, v13
	v_xor_b32_e32 v23, vcc_lo, v13
	; wave barrier
	ds_read_b32 v7, v24 offset:64
	v_and_b32_e32 v13, v12, v22
	v_and_b32_e32 v12, v26, v23
	v_mbcnt_lo_u32_b32 v22, v12, 0
	v_mbcnt_hi_u32_b32 v25, v13, v22
	v_cmp_eq_u32_e32 vcc, 0, v25
	v_cmp_ne_u64_e64 s[0:1], 0, v[12:13]
	s_and_b64 s[4:5], s[0:1], vcc
	; wave barrier
	s_and_saveexec_b64 s[0:1], s[4:5]
	s_cbranch_execz .LBB14_101
; %bb.100:
	v_bcnt_u32_b32 v12, v12, 0
	v_bcnt_u32_b32 v12, v13, v12
	s_waitcnt lgkmcnt(0)
	v_add_u32_e32 v12, v7, v12
	ds_write_b32 v24, v12 offset:64
.LBB14_101:
	s_or_b64 exec, exec, s[0:1]
	s_waitcnt vmcnt(3)
	v_not_b32_e32 v13, v21
	v_not_b32_e32 v12, v20
	v_lshrrev_b64 v[20:21], s44, v[12:13]
	v_and_b32_e32 v28, s14, v20
	s_movk_i32 s4, 0x44
	v_mul_lo_u32 v20, v28, s4
	v_lshl_add_u32 v27, v30, 2, v20
	v_and_b32_e32 v20, 1, v28
	v_mov_b32_e32 v21, 0
	v_lshl_add_u64 v[22:23], v[20:21], 0, -1
	v_cmp_ne_u32_e32 vcc, 0, v20
	; wave barrier
	s_nop 1
	v_xor_b32_e32 v22, vcc_lo, v22
	v_xor_b32_e32 v20, vcc_hi, v23
	v_and_b32_e32 v29, exec_lo, v22
	v_lshlrev_b32_e32 v23, 30, v28
	v_mov_b32_e32 v22, v21
	v_cmp_gt_i64_e32 vcc, 0, v[22:23]
	v_not_b32_e32 v22, v23
	v_ashrrev_i32_e32 v22, 31, v22
	v_and_b32_e32 v20, exec_hi, v20
	v_xor_b32_e32 v23, vcc_hi, v22
	v_xor_b32_e32 v22, vcc_lo, v22
	v_and_b32_e32 v20, v20, v23
	v_and_b32_e32 v29, v29, v22
	v_lshlrev_b32_e32 v23, 29, v28
	v_mov_b32_e32 v22, v21
	v_cmp_gt_i64_e32 vcc, 0, v[22:23]
	v_not_b32_e32 v22, v23
	v_ashrrev_i32_e32 v22, 31, v22
	v_xor_b32_e32 v23, vcc_hi, v22
	v_xor_b32_e32 v22, vcc_lo, v22
	v_and_b32_e32 v20, v20, v23
	v_and_b32_e32 v29, v29, v22
	v_lshlrev_b32_e32 v23, 28, v28
	v_mov_b32_e32 v22, v21
	v_cmp_gt_i64_e32 vcc, 0, v[22:23]
	v_not_b32_e32 v22, v23
	v_ashrrev_i32_e32 v22, 31, v22
	;; [unrolled: 9-line block ×4, first 2 shown]
	v_xor_b32_e32 v23, vcc_hi, v22
	v_xor_b32_e32 v22, vcc_lo, v22
	ds_read_b32 v26, v27 offset:64
	v_and_b32_e32 v22, v29, v22
	v_and_b32_e32 v23, v20, v23
	v_mbcnt_lo_u32_b32 v20, v22, 0
	v_mbcnt_hi_u32_b32 v28, v23, v20
	v_cmp_eq_u32_e32 vcc, 0, v28
	v_cmp_ne_u64_e64 s[0:1], 0, v[22:23]
	s_and_b64 s[6:7], s[0:1], vcc
	; wave barrier
	s_and_saveexec_b64 s[0:1], s[6:7]
	s_cbranch_execz .LBB14_103
; %bb.102:
	v_bcnt_u32_b32 v20, v22, 0
	v_bcnt_u32_b32 v20, v23, v20
	s_waitcnt lgkmcnt(0)
	v_add_u32_e32 v20, v26, v20
	ds_write_b32 v27, v20 offset:64
.LBB14_103:
	s_or_b64 exec, exec, s[0:1]
	s_waitcnt vmcnt(2)
	v_not_b32_e32 v17, v17
	v_not_b32_e32 v16, v16
	v_lshrrev_b64 v[22:23], s44, v[16:17]
	v_and_b32_e32 v32, s14, v22
	v_mul_lo_u32 v20, v32, s4
	v_lshl_add_u32 v31, v30, 2, v20
	v_and_b32_e32 v20, 1, v32
	v_lshl_add_u64 v[22:23], v[20:21], 0, -1
	v_cmp_ne_u32_e32 vcc, 0, v20
	; wave barrier
	s_nop 1
	v_xor_b32_e32 v22, vcc_lo, v22
	v_xor_b32_e32 v20, vcc_hi, v23
	v_and_b32_e32 v33, exec_lo, v22
	v_lshlrev_b32_e32 v23, 30, v32
	v_mov_b32_e32 v22, v21
	v_cmp_gt_i64_e32 vcc, 0, v[22:23]
	v_not_b32_e32 v22, v23
	v_ashrrev_i32_e32 v22, 31, v22
	v_and_b32_e32 v20, exec_hi, v20
	v_xor_b32_e32 v23, vcc_hi, v22
	v_xor_b32_e32 v22, vcc_lo, v22
	v_and_b32_e32 v20, v20, v23
	v_and_b32_e32 v33, v33, v22
	v_lshlrev_b32_e32 v23, 29, v32
	v_mov_b32_e32 v22, v21
	v_cmp_gt_i64_e32 vcc, 0, v[22:23]
	v_not_b32_e32 v22, v23
	v_ashrrev_i32_e32 v22, 31, v22
	v_xor_b32_e32 v23, vcc_hi, v22
	v_xor_b32_e32 v22, vcc_lo, v22
	v_and_b32_e32 v20, v20, v23
	v_and_b32_e32 v33, v33, v22
	v_lshlrev_b32_e32 v23, 28, v32
	v_mov_b32_e32 v22, v21
	v_cmp_gt_i64_e32 vcc, 0, v[22:23]
	v_not_b32_e32 v22, v23
	v_ashrrev_i32_e32 v22, 31, v22
	;; [unrolled: 9-line block ×3, first 2 shown]
	v_xor_b32_e32 v23, vcc_hi, v22
	v_xor_b32_e32 v22, vcc_lo, v22
	v_and_b32_e32 v20, v20, v23
	v_lshlrev_b32_e32 v23, 26, v32
	v_and_b32_e32 v33, v33, v22
	v_mov_b32_e32 v22, v21
	v_not_b32_e32 v21, v23
	v_cmp_gt_i64_e32 vcc, 0, v[22:23]
	v_ashrrev_i32_e32 v21, 31, v21
	ds_read_b32 v29, v31 offset:64
	v_xor_b32_e32 v22, vcc_hi, v21
	v_xor_b32_e32 v23, vcc_lo, v21
	v_and_b32_e32 v21, v20, v22
	v_and_b32_e32 v20, v33, v23
	v_mbcnt_lo_u32_b32 v22, v20, 0
	v_mbcnt_hi_u32_b32 v32, v21, v22
	v_cmp_eq_u32_e32 vcc, 0, v32
	v_cmp_ne_u64_e64 s[0:1], 0, v[20:21]
	s_and_b64 s[4:5], s[0:1], vcc
	; wave barrier
	s_and_saveexec_b64 s[0:1], s[4:5]
	s_cbranch_execz .LBB14_105
; %bb.104:
	v_bcnt_u32_b32 v20, v20, 0
	v_bcnt_u32_b32 v20, v21, v20
	s_waitcnt lgkmcnt(0)
	v_add_u32_e32 v20, v29, v20
	ds_write_b32 v31, v20 offset:64
.LBB14_105:
	s_or_b64 exec, exec, s[0:1]
	s_waitcnt vmcnt(1)
	v_not_b32_e32 v21, v19
	v_not_b32_e32 v20, v18
	v_lshrrev_b64 v[18:19], s44, v[20:21]
	v_and_b32_e32 v35, s14, v18
	s_movk_i32 s4, 0x44
	v_mul_lo_u32 v18, v35, s4
	v_lshl_add_u32 v34, v30, 2, v18
	v_and_b32_e32 v18, 1, v35
	v_mov_b32_e32 v19, 0
	v_lshl_add_u64 v[22:23], v[18:19], 0, -1
	v_cmp_ne_u32_e32 vcc, 0, v18
	; wave barrier
	s_nop 1
	v_xor_b32_e32 v22, vcc_lo, v22
	v_xor_b32_e32 v18, vcc_hi, v23
	v_and_b32_e32 v36, exec_lo, v22
	v_lshlrev_b32_e32 v23, 30, v35
	v_mov_b32_e32 v22, v19
	v_cmp_gt_i64_e32 vcc, 0, v[22:23]
	v_not_b32_e32 v22, v23
	v_ashrrev_i32_e32 v22, 31, v22
	v_and_b32_e32 v18, exec_hi, v18
	v_xor_b32_e32 v23, vcc_hi, v22
	v_xor_b32_e32 v22, vcc_lo, v22
	v_and_b32_e32 v18, v18, v23
	v_and_b32_e32 v36, v36, v22
	v_lshlrev_b32_e32 v23, 29, v35
	v_mov_b32_e32 v22, v19
	v_cmp_gt_i64_e32 vcc, 0, v[22:23]
	v_not_b32_e32 v22, v23
	v_ashrrev_i32_e32 v22, 31, v22
	v_xor_b32_e32 v23, vcc_hi, v22
	v_xor_b32_e32 v22, vcc_lo, v22
	v_and_b32_e32 v18, v18, v23
	v_and_b32_e32 v36, v36, v22
	v_lshlrev_b32_e32 v23, 28, v35
	v_mov_b32_e32 v22, v19
	v_cmp_gt_i64_e32 vcc, 0, v[22:23]
	v_not_b32_e32 v22, v23
	v_ashrrev_i32_e32 v22, 31, v22
	;; [unrolled: 9-line block ×4, first 2 shown]
	v_xor_b32_e32 v23, vcc_hi, v22
	v_xor_b32_e32 v22, vcc_lo, v22
	ds_read_b32 v33, v34 offset:64
	v_and_b32_e32 v22, v36, v22
	v_and_b32_e32 v23, v18, v23
	v_mbcnt_lo_u32_b32 v18, v22, 0
	v_mbcnt_hi_u32_b32 v35, v23, v18
	v_cmp_eq_u32_e32 vcc, 0, v35
	v_cmp_ne_u64_e64 s[0:1], 0, v[22:23]
	s_and_b64 s[6:7], s[0:1], vcc
	; wave barrier
	s_and_saveexec_b64 s[0:1], s[6:7]
	s_cbranch_execz .LBB14_107
; %bb.106:
	v_bcnt_u32_b32 v18, v22, 0
	v_bcnt_u32_b32 v18, v23, v18
	s_waitcnt lgkmcnt(0)
	v_add_u32_e32 v18, v33, v18
	ds_write_b32 v34, v18 offset:64
.LBB14_107:
	s_or_b64 exec, exec, s[0:1]
	s_waitcnt vmcnt(0)
	v_not_b32_e32 v23, v15
	v_not_b32_e32 v22, v14
	v_lshrrev_b64 v[14:15], s44, v[22:23]
	v_and_b32_e32 v36, s14, v14
	v_mul_lo_u32 v14, v36, s4
	v_and_b32_e32 v18, 1, v36
	v_lshl_add_u32 v37, v30, 2, v14
	v_lshl_add_u64 v[14:15], v[18:19], 0, -1
	v_cmp_ne_u32_e32 vcc, 0, v18
	; wave barrier
	s_nop 1
	v_xor_b32_e32 v15, vcc_hi, v15
	v_xor_b32_e32 v14, vcc_lo, v14
	v_and_b32_e32 v18, exec_hi, v15
	v_and_b32_e32 v38, exec_lo, v14
	v_lshlrev_b32_e32 v15, 30, v36
	v_mov_b32_e32 v14, v19
	v_cmp_gt_i64_e32 vcc, 0, v[14:15]
	v_not_b32_e32 v14, v15
	v_ashrrev_i32_e32 v14, 31, v14
	v_xor_b32_e32 v15, vcc_hi, v14
	v_xor_b32_e32 v14, vcc_lo, v14
	v_and_b32_e32 v18, v18, v15
	v_and_b32_e32 v38, v38, v14
	v_lshlrev_b32_e32 v15, 29, v36
	v_mov_b32_e32 v14, v19
	v_cmp_gt_i64_e32 vcc, 0, v[14:15]
	v_not_b32_e32 v14, v15
	v_ashrrev_i32_e32 v14, 31, v14
	v_xor_b32_e32 v15, vcc_hi, v14
	v_xor_b32_e32 v14, vcc_lo, v14
	v_and_b32_e32 v18, v18, v15
	v_and_b32_e32 v38, v38, v14
	;; [unrolled: 9-line block ×4, first 2 shown]
	v_lshlrev_b32_e32 v15, 26, v36
	v_mov_b32_e32 v14, v19
	v_cmp_gt_i64_e32 vcc, 0, v[14:15]
	v_not_b32_e32 v14, v15
	v_ashrrev_i32_e32 v14, 31, v14
	v_xor_b32_e32 v15, vcc_hi, v14
	v_xor_b32_e32 v14, vcc_lo, v14
	ds_read_b32 v30, v37 offset:64
	v_and_b32_e32 v14, v38, v14
	v_and_b32_e32 v15, v18, v15
	v_mbcnt_lo_u32_b32 v18, v14, 0
	v_mbcnt_hi_u32_b32 v36, v15, v18
	v_cmp_eq_u32_e32 vcc, 0, v36
	v_cmp_ne_u64_e64 s[0:1], 0, v[14:15]
	s_and_b64 s[4:5], s[0:1], vcc
	; wave barrier
	s_and_saveexec_b64 s[0:1], s[4:5]
	s_cbranch_execz .LBB14_109
; %bb.108:
	v_bcnt_u32_b32 v14, v14, 0
	v_bcnt_u32_b32 v14, v15, v14
	s_waitcnt lgkmcnt(0)
	v_add_u32_e32 v14, v30, v14
	ds_write_b32 v37, v14 offset:64
.LBB14_109:
	s_or_b64 exec, exec, s[0:1]
	; wave barrier
	s_waitcnt lgkmcnt(0)
	s_barrier
	ds_read_b64 v[14:15], v0 offset:64
	v_and_b32_e32 v18, 15, v1
	v_cmp_eq_u32_e32 vcc, 0, v18
	v_cmp_lt_u32_e64 s[0:1], 1, v18
	v_cmp_lt_u32_e64 s[6:7], 3, v18
	s_waitcnt lgkmcnt(0)
	v_add_u32_e32 v15, v15, v14
	v_cmp_lt_u32_e64 s[4:5], 7, v18
	v_cmp_lt_u32_e64 s[8:9], 31, v1
	v_mov_b32_dpp v19, v15 row_shr:1 row_mask:0xf bank_mask:0xf
	v_cndmask_b32_e64 v19, v19, 0, vcc
	v_add_u32_e32 v15, v19, v15
	s_nop 1
	v_mov_b32_dpp v19, v15 row_shr:2 row_mask:0xf bank_mask:0xf
	v_cndmask_b32_e64 v19, 0, v19, s[0:1]
	v_add_u32_e32 v15, v15, v19
	s_nop 1
	v_mov_b32_dpp v19, v15 row_shr:4 row_mask:0xf bank_mask:0xf
	v_cndmask_b32_e64 v19, 0, v19, s[6:7]
	;; [unrolled: 4-line block ×3, first 2 shown]
	v_add_u32_e32 v15, v15, v18
	v_bfe_i32 v19, v1, 4, 1
	s_nop 0
	v_mov_b32_dpp v18, v15 row_bcast:15 row_mask:0xf bank_mask:0xf
	v_and_b32_e32 v18, v19, v18
	v_add_u32_e32 v15, v15, v18
	v_and_b32_e32 v19, 63, v6
	s_nop 0
	v_mov_b32_dpp v18, v15 row_bcast:31 row_mask:0xf bank_mask:0xf
	v_cndmask_b32_e64 v18, 0, v18, s[8:9]
	v_add_u32_e32 v15, v15, v18
	v_lshrrev_b32_e32 v18, 6, v6
	v_cmp_eq_u32_e64 s[8:9], 63, v19
	s_and_saveexec_b64 s[12:13], s[8:9]
; %bb.110:
	v_lshlrev_b32_e32 v19, 2, v18
	ds_write_b32 v19, v15
; %bb.111:
	s_or_b64 exec, exec, s[12:13]
	v_cmp_gt_u32_e64 s[8:9], 16, v6
	s_waitcnt lgkmcnt(0)
	s_barrier
	s_and_saveexec_b64 s[12:13], s[8:9]
	s_cbranch_execz .LBB14_113
; %bb.112:
	v_lshlrev_b32_e32 v19, 2, v6
	ds_read_b32 v38, v19
	s_waitcnt lgkmcnt(0)
	s_nop 0
	v_mov_b32_dpp v39, v38 row_shr:1 row_mask:0xf bank_mask:0xf
	v_cndmask_b32_e64 v39, v39, 0, vcc
	v_add_u32_e32 v38, v39, v38
	s_nop 1
	v_mov_b32_dpp v39, v38 row_shr:2 row_mask:0xf bank_mask:0xf
	v_cndmask_b32_e64 v39, 0, v39, s[0:1]
	v_add_u32_e32 v38, v38, v39
	s_nop 1
	v_mov_b32_dpp v39, v38 row_shr:4 row_mask:0xf bank_mask:0xf
	v_cndmask_b32_e64 v39, 0, v39, s[6:7]
	;; [unrolled: 4-line block ×3, first 2 shown]
	v_add_u32_e32 v38, v38, v39
	ds_write_b32 v19, v38
.LBB14_113:
	s_or_b64 exec, exec, s[12:13]
	v_cmp_gt_u32_e64 s[0:1], 64, v6
	v_cmp_lt_u32_e32 vcc, 63, v6
	v_mov_b32_e32 v19, 0
	s_waitcnt lgkmcnt(0)
	s_barrier
	s_and_saveexec_b64 s[4:5], vcc
; %bb.114:
	v_lshl_add_u32 v18, v18, 2, -4
	ds_read_b32 v19, v18
; %bb.115:
	s_or_b64 exec, exec, s[4:5]
	v_add_u32_e32 v18, -1, v1
	v_and_b32_e32 v38, 64, v1
	v_cmp_lt_i32_e64 s[4:5], v18, v38
	s_waitcnt lgkmcnt(0)
	v_add_u32_e32 v15, v19, v15
	v_cndmask_b32_e64 v18, v18, v1, s[4:5]
	v_lshlrev_b32_e32 v18, 2, v18
	ds_bpermute_b32 v15, v18, v15
	v_cmp_eq_u32_e64 s[4:5], 0, v1
	s_waitcnt lgkmcnt(0)
	s_nop 0
	v_cndmask_b32_e64 v1, v15, v19, s[4:5]
	v_cmp_ne_u32_e64 s[4:5], 0, v6
	s_nop 1
	v_cndmask_b32_e64 v18, 0, v1, s[4:5]
	v_add_u32_e32 v19, v18, v14
	ds_write_b64 v0, v[18:19] offset:64
	s_waitcnt lgkmcnt(0)
	s_barrier
	ds_read_b32 v19, v5 offset:64
	ds_read_b32 v38, v24 offset:64
	;; [unrolled: 1-line block ×6, first 2 shown]
	v_mov_b64_e32 v[14:15], 0
                                        ; implicit-def: $vgpr18
	s_and_saveexec_b64 s[6:7], s[0:1]
	s_cbranch_execz .LBB14_119
; %bb.116:
	v_mul_u32_u24_e32 v14, 0x44, v6
	ds_read_b32 v14, v14 offset:64
	v_add_u32_e32 v18, 1, v6
	v_cmp_ne_u32_e64 s[4:5], 64, v18
	v_mov_b32_e32 v15, 0x1800
	s_and_saveexec_b64 s[8:9], s[4:5]
; %bb.117:
	v_mul_u32_u24_e32 v15, 0x44, v18
	ds_read_b32 v15, v15 offset:64
; %bb.118:
	s_or_b64 exec, exec, s[8:9]
	s_waitcnt lgkmcnt(0)
	v_sub_u32_e32 v18, v15, v14
	v_mov_b32_e32 v15, 0
.LBB14_119:
	s_or_b64 exec, exec, s[6:7]
	v_lshlrev_b32_e32 v3, 3, v3
	s_waitcnt lgkmcnt(5)
	v_lshl_add_u32 v19, v19, 3, v3
	s_waitcnt lgkmcnt(0)
	s_barrier
	ds_write_b64 v19, v[8:9] offset:512
	v_lshlrev_b32_e32 v3, 3, v25
	v_lshlrev_b32_e32 v7, 3, v7
	v_lshlrev_b32_e32 v8, 3, v38
	v_add3_u32 v7, v3, v7, v8
	v_lshlrev_b32_e32 v3, 3, v28
	v_lshlrev_b32_e32 v8, 3, v26
	v_lshlrev_b32_e32 v9, 3, v24
	v_add3_u32 v24, v3, v8, v9
	v_lshlrev_b32_e32 v3, 3, v32
	v_lshlrev_b32_e32 v8, 3, v29
	v_lshlrev_b32_e32 v9, 3, v27
	v_add3_u32 v25, v3, v8, v9
	v_lshlrev_b32_e32 v3, 3, v35
	v_lshlrev_b32_e32 v8, 3, v33
	;; [unrolled: 1-line block ×3, first 2 shown]
	ds_write_b64 v7, v[10:11] offset:512
	ds_write_b64 v24, v[12:13] offset:512
	;; [unrolled: 1-line block ×3, first 2 shown]
	v_add3_u32 v16, v3, v8, v5
	v_lshlrev_b32_e32 v3, 3, v36
	v_lshlrev_b32_e32 v5, 3, v30
	;; [unrolled: 1-line block ×3, first 2 shown]
	v_add3_u32 v17, v3, v5, v1
	v_mov_b32_e32 v9, 0
	ds_write_b64 v16, v[20:21] offset:512
	ds_write_b64 v17, v[22:23] offset:512
	s_waitcnt lgkmcnt(0)
	s_barrier
	s_and_saveexec_b64 s[4:5], s[0:1]
	s_cbranch_execz .LBB14_129
; %bb.120:
	v_lshl_add_u32 v8, s2, 6, v6
	v_lshl_add_u64 v[10:11], v[8:9], 2, s[34:35]
	v_or_b32_e32 v1, 2.0, v18
	global_store_dword v[10:11], v1, off sc1
	s_mov_b64 s[6:7], 0
	s_brev_b32 s15, -4
	s_mov_b32 s16, s2
	v_mov_b32_e32 v1, 0
                                        ; implicit-def: $sgpr0_sgpr1
	s_branch .LBB14_123
.LBB14_121:                             ;   in Loop: Header=BB14_123 Depth=1
	s_or_b64 exec, exec, s[12:13]
.LBB14_122:                             ;   in Loop: Header=BB14_123 Depth=1
	s_or_b64 exec, exec, s[8:9]
	v_and_b32_e32 v5, 0x3fffffff, v3
	v_add_u32_e32 v1, v5, v1
	v_cmp_gt_i32_e64 s[0:1], -2.0, v3
	s_and_b64 s[8:9], exec, s[0:1]
	s_or_b64 s[6:7], s[8:9], s[6:7]
	s_andn2_b64 exec, exec, s[6:7]
	s_cbranch_execz .LBB14_128
.LBB14_123:                             ; =>This Loop Header: Depth=1
                                        ;     Child Loop BB14_126 Depth 2
	s_or_b64 s[0:1], s[0:1], exec
	s_cmp_eq_u32 s16, 0
	s_cbranch_scc1 .LBB14_127
; %bb.124:                              ;   in Loop: Header=BB14_123 Depth=1
	s_add_i32 s16, s16, -1
	v_lshl_or_b32 v8, s16, 6, v6
	v_lshl_add_u64 v[12:13], v[8:9], 2, s[34:35]
	global_load_dword v3, v[12:13], off sc1
	s_waitcnt vmcnt(0)
	v_cmp_gt_u32_e64 s[0:1], 2.0, v3
	s_and_saveexec_b64 s[8:9], s[0:1]
	s_cbranch_execz .LBB14_122
; %bb.125:                              ;   in Loop: Header=BB14_123 Depth=1
	s_mov_b64 s[12:13], 0
.LBB14_126:                             ;   Parent Loop BB14_123 Depth=1
                                        ; =>  This Inner Loop Header: Depth=2
	global_load_dword v3, v[12:13], off sc1
	s_waitcnt vmcnt(0)
	v_cmp_lt_u32_e64 s[0:1], s15, v3
	s_or_b64 s[12:13], s[0:1], s[12:13]
	s_andn2_b64 exec, exec, s[12:13]
	s_cbranch_execnz .LBB14_126
	s_branch .LBB14_121
.LBB14_127:                             ;   in Loop: Header=BB14_123 Depth=1
                                        ; implicit-def: $sgpr16
	s_and_b64 s[8:9], exec, s[0:1]
	s_or_b64 s[6:7], s[8:9], s[6:7]
	s_andn2_b64 exec, exec, s[6:7]
	s_cbranch_execnz .LBB14_123
.LBB14_128:
	s_or_b64 exec, exec, s[6:7]
	v_add_u32_e32 v3, v1, v18
	v_or_b32_e32 v3, 0x80000000, v3
	global_store_dword v[10:11], v3, off sc1
	global_load_dwordx2 v[8:9], v0, s[28:29]
	v_sub_co_u32_e64 v10, s[0:1], v1, v14
	s_nop 1
	v_subb_co_u32_e64 v11, s[0:1], 0, v15, s[0:1]
	s_waitcnt vmcnt(0)
	v_lshl_add_u64 v[8:9], v[10:11], 0, v[8:9]
	ds_write_b64 v0, v[8:9]
.LBB14_129:
	s_or_b64 exec, exec, s[4:5]
	s_waitcnt lgkmcnt(0)
	s_barrier
	ds_read2st64_b64 v[8:11], v0 offset0:1 offset1:17
	s_add_u32 s0, s40, s10
	s_addc_u32 s1, s41, s11
	s_add_i32 s3, s3, -1
	s_cmp_eq_u32 s2, s3
	s_waitcnt lgkmcnt(0)
	v_lshrrev_b64 v[12:13], s44, v[8:9]
	v_and_b32_e32 v1, s14, v12
	v_lshlrev_b32_e32 v6, 3, v1
	ds_read2st64_b64 v[20:23], v0 offset0:33 offset1:49
	ds_read_b64 v[12:13], v6
	v_lshrrev_b64 v[26:27], s44, v[10:11]
	v_and_b32_e32 v1, s14, v26
	v_lshlrev_b32_e32 v36, 3, v1
	s_waitcnt lgkmcnt(1)
	v_lshrrev_b64 v[26:27], s44, v[20:21]
	v_and_b32_e32 v1, s14, v26
	v_lshrrev_b64 v[26:27], s44, v[22:23]
	v_lshlrev_b32_e32 v37, 3, v1
	v_and_b32_e32 v1, s14, v26
	v_lshlrev_b32_e32 v38, 3, v1
	ds_read_b64 v[26:27], v36
	ds_read_b64 v[28:29], v37
	;; [unrolled: 1-line block ×3, first 2 shown]
	s_waitcnt lgkmcnt(3)
	v_lshl_add_u64 v[12:13], v[12:13], 3, s[38:39]
	v_mov_b32_e32 v1, 0
	v_not_b32_e32 v9, v9
	v_not_b32_e32 v8, v8
	v_lshl_add_u64 v[12:13], v[12:13], 0, v[0:1]
	global_store_dwordx2 v[12:13], v[8:9], off
	v_not_b32_e32 v9, v11
	v_not_b32_e32 v8, v10
	s_waitcnt lgkmcnt(2)
	v_lshl_add_u64 v[10:11], v[26:27], 3, s[38:39]
	v_or_b32_e32 v12, 0x2000, v0
	v_mov_b32_e32 v13, v1
	v_lshl_add_u64 v[10:11], v[10:11], 0, v[12:13]
	global_store_dwordx2 v[10:11], v[8:9], off
	v_not_b32_e32 v9, v21
	v_not_b32_e32 v8, v20
	s_waitcnt lgkmcnt(1)
	v_lshl_add_u64 v[10:11], v[28:29], 3, s[38:39]
	v_or_b32_e32 v20, 0x4000, v0
	v_mov_b32_e32 v21, v1
	v_lshl_add_u64 v[10:11], v[10:11], 0, v[20:21]
	global_store_dwordx2 v[10:11], v[8:9], off
	ds_read2st64_b64 v[8:11], v0 offset0:65 offset1:81
	s_waitcnt lgkmcnt(1)
	v_lshl_add_u64 v[26:27], v[30:31], 3, s[38:39]
	v_or_b32_e32 v28, 0x6000, v0
	v_mov_b32_e32 v29, v1
	v_not_b32_e32 v23, v23
	v_not_b32_e32 v22, v22
	v_lshl_add_u64 v[26:27], v[26:27], 0, v[28:29]
	global_store_dwordx2 v[26:27], v[22:23], off
	s_waitcnt lgkmcnt(0)
	v_lshrrev_b64 v[22:23], s44, v[8:9]
	v_and_b32_e32 v3, s14, v22
	v_lshlrev_b32_e32 v39, 3, v3
	v_lshrrev_b64 v[26:27], s44, v[10:11]
	ds_read_b64 v[22:23], v39
	v_and_b32_e32 v3, s14, v26
	v_lshlrev_b32_e32 v40, 3, v3
	ds_read_b64 v[26:27], v40
	v_or_b32_e32 v30, 0x8000, v0
	s_waitcnt lgkmcnt(1)
	v_lshl_add_u64 v[22:23], v[22:23], 3, s[38:39]
	v_mov_b32_e32 v31, v1
	v_not_b32_e32 v9, v9
	v_not_b32_e32 v8, v8
	v_lshl_add_u64 v[22:23], v[22:23], 0, v[30:31]
	global_store_dwordx2 v[22:23], v[8:9], off
	v_not_b32_e32 v9, v11
	v_not_b32_e32 v8, v10
	s_waitcnt lgkmcnt(0)
	v_lshl_add_u64 v[10:11], v[26:27], 3, s[38:39]
	v_or_b32_e32 v22, 0xa000, v0
	v_mov_b32_e32 v23, v1
	v_mov_b32_e32 v3, v1
	v_lshl_add_u64 v[10:11], v[10:11], 0, v[22:23]
	v_lshl_add_u64 v[2:3], s[0:1], 0, v[2:3]
	v_mov_b32_e32 v5, v1
	global_store_dwordx2 v[10:11], v[8:9], off
	v_lshl_add_u64 v[2:3], v[2:3], 0, v[4:5]
	global_load_dwordx2 v[4:5], v[2:3], off
	global_load_dwordx2 v[8:9], v[2:3], off offset:512
	global_load_dwordx2 v[10:11], v[2:3], off offset:1024
	;; [unrolled: 1-line block ×5, first 2 shown]
	s_barrier
	s_cselect_b64 s[0:1], -1, 0
	s_xor_b64 s[2:3], vcc, -1
	s_and_b64 s[0:1], s[2:3], s[0:1]
	s_waitcnt vmcnt(5)
	ds_write_b64 v19, v[4:5] offset:512
	s_waitcnt vmcnt(4)
	ds_write_b64 v7, v[8:9] offset:512
	;; [unrolled: 2-line block ×6, first 2 shown]
	s_waitcnt lgkmcnt(0)
	s_barrier
	ds_read_b64 v[6:7], v6
	ds_read_b64 v[8:9], v36
	ds_read2st64_b64 v[2:5], v0 offset0:1 offset1:17
	ds_read_b64 v[10:11], v37
	ds_read_b64 v[16:17], v38
	s_waitcnt lgkmcnt(4)
	v_lshl_add_u64 v[6:7], v[6:7], 3, s[42:43]
	v_lshl_add_u64 v[6:7], v[6:7], 0, v[0:1]
	s_waitcnt lgkmcnt(3)
	v_lshl_add_u64 v[24:25], v[8:9], 3, s[42:43]
	s_waitcnt lgkmcnt(2)
	global_store_dwordx2 v[6:7], v[2:3], off
	ds_read2st64_b64 v[6:9], v0 offset0:33 offset1:49
	v_lshl_add_u64 v[2:3], v[24:25], 0, v[12:13]
	global_store_dwordx2 v[2:3], v[4:5], off
	s_waitcnt lgkmcnt(2)
	v_lshl_add_u64 v[2:3], v[10:11], 3, s[42:43]
	v_lshl_add_u64 v[2:3], v[2:3], 0, v[20:21]
	s_waitcnt lgkmcnt(0)
	global_store_dwordx2 v[2:3], v[6:7], off
	ds_read_b64 v[6:7], v39
	v_lshl_add_u64 v[2:3], v[16:17], 3, s[42:43]
	v_lshl_add_u64 v[10:11], v[2:3], 0, v[28:29]
	ds_read2st64_b64 v[2:5], v0 offset0:65 offset1:81
	ds_read_b64 v[12:13], v40
	global_store_dwordx2 v[10:11], v[8:9], off
	s_waitcnt lgkmcnt(2)
	v_lshl_add_u64 v[6:7], v[6:7], 3, s[42:43]
	v_lshl_add_u64 v[6:7], v[6:7], 0, v[30:31]
	s_waitcnt lgkmcnt(1)
	global_store_dwordx2 v[6:7], v[2:3], off
	s_waitcnt lgkmcnt(0)
	v_lshl_add_u64 v[2:3], v[12:13], 3, s[42:43]
	v_lshl_add_u64 v[2:3], v[2:3], 0, v[22:23]
	global_store_dwordx2 v[2:3], v[4:5], off
	s_and_saveexec_b64 s[2:3], s[0:1]
	s_cbranch_execz .LBB14_131
; %bb.130:
	ds_read_b64 v[2:3], v0
	v_mov_b32_e32 v19, v1
	v_lshl_add_u64 v[4:5], v[14:15], 0, v[18:19]
	s_waitcnt lgkmcnt(0)
	v_lshl_add_u64 v[2:3], v[4:5], 0, v[2:3]
	global_store_dwordx2 v0, v[2:3], s[30:31]
.LBB14_131:
	s_endpgm
	.section	.rodata,"a",@progbits
	.p2align	6, 0x0
	.amdhsa_kernel _ZN7rocprim17ROCPRIM_304000_NS6detail25onesweep_iteration_kernelINS1_34wrapped_radix_sort_onesweep_configINS0_14default_configEmN2at4cuda3cub6detail10OpaqueTypeILi8EEEEELb1EPKmPmPKSA_PSA_mNS0_19identity_decomposerEEEvT1_T2_T3_T4_jPT5_SO_PNS1_23onesweep_lookback_stateET6_jjj
		.amdhsa_group_segment_fixed_size 49664
		.amdhsa_private_segment_fixed_size 0
		.amdhsa_kernarg_size 336
		.amdhsa_user_sgpr_count 2
		.amdhsa_user_sgpr_dispatch_ptr 0
		.amdhsa_user_sgpr_queue_ptr 0
		.amdhsa_user_sgpr_kernarg_segment_ptr 1
		.amdhsa_user_sgpr_dispatch_id 0
		.amdhsa_user_sgpr_kernarg_preload_length 0
		.amdhsa_user_sgpr_kernarg_preload_offset 0
		.amdhsa_user_sgpr_private_segment_size 0
		.amdhsa_uses_dynamic_stack 0
		.amdhsa_enable_private_segment 0
		.amdhsa_system_sgpr_workgroup_id_x 1
		.amdhsa_system_sgpr_workgroup_id_y 0
		.amdhsa_system_sgpr_workgroup_id_z 0
		.amdhsa_system_sgpr_workgroup_info 0
		.amdhsa_system_vgpr_workitem_id 2
		.amdhsa_next_free_vgpr 42
		.amdhsa_next_free_sgpr 52
		.amdhsa_accum_offset 44
		.amdhsa_reserve_vcc 1
		.amdhsa_float_round_mode_32 0
		.amdhsa_float_round_mode_16_64 0
		.amdhsa_float_denorm_mode_32 3
		.amdhsa_float_denorm_mode_16_64 3
		.amdhsa_dx10_clamp 1
		.amdhsa_ieee_mode 1
		.amdhsa_fp16_overflow 0
		.amdhsa_tg_split 0
		.amdhsa_exception_fp_ieee_invalid_op 0
		.amdhsa_exception_fp_denorm_src 0
		.amdhsa_exception_fp_ieee_div_zero 0
		.amdhsa_exception_fp_ieee_overflow 0
		.amdhsa_exception_fp_ieee_underflow 0
		.amdhsa_exception_fp_ieee_inexact 0
		.amdhsa_exception_int_div_zero 0
	.end_amdhsa_kernel
	.section	.text._ZN7rocprim17ROCPRIM_304000_NS6detail25onesweep_iteration_kernelINS1_34wrapped_radix_sort_onesweep_configINS0_14default_configEmN2at4cuda3cub6detail10OpaqueTypeILi8EEEEELb1EPKmPmPKSA_PSA_mNS0_19identity_decomposerEEEvT1_T2_T3_T4_jPT5_SO_PNS1_23onesweep_lookback_stateET6_jjj,"axG",@progbits,_ZN7rocprim17ROCPRIM_304000_NS6detail25onesweep_iteration_kernelINS1_34wrapped_radix_sort_onesweep_configINS0_14default_configEmN2at4cuda3cub6detail10OpaqueTypeILi8EEEEELb1EPKmPmPKSA_PSA_mNS0_19identity_decomposerEEEvT1_T2_T3_T4_jPT5_SO_PNS1_23onesweep_lookback_stateET6_jjj,comdat
.Lfunc_end14:
	.size	_ZN7rocprim17ROCPRIM_304000_NS6detail25onesweep_iteration_kernelINS1_34wrapped_radix_sort_onesweep_configINS0_14default_configEmN2at4cuda3cub6detail10OpaqueTypeILi8EEEEELb1EPKmPmPKSA_PSA_mNS0_19identity_decomposerEEEvT1_T2_T3_T4_jPT5_SO_PNS1_23onesweep_lookback_stateET6_jjj, .Lfunc_end14-_ZN7rocprim17ROCPRIM_304000_NS6detail25onesweep_iteration_kernelINS1_34wrapped_radix_sort_onesweep_configINS0_14default_configEmN2at4cuda3cub6detail10OpaqueTypeILi8EEEEELb1EPKmPmPKSA_PSA_mNS0_19identity_decomposerEEEvT1_T2_T3_T4_jPT5_SO_PNS1_23onesweep_lookback_stateET6_jjj
                                        ; -- End function
	.set _ZN7rocprim17ROCPRIM_304000_NS6detail25onesweep_iteration_kernelINS1_34wrapped_radix_sort_onesweep_configINS0_14default_configEmN2at4cuda3cub6detail10OpaqueTypeILi8EEEEELb1EPKmPmPKSA_PSA_mNS0_19identity_decomposerEEEvT1_T2_T3_T4_jPT5_SO_PNS1_23onesweep_lookback_stateET6_jjj.num_vgpr, 42
	.set _ZN7rocprim17ROCPRIM_304000_NS6detail25onesweep_iteration_kernelINS1_34wrapped_radix_sort_onesweep_configINS0_14default_configEmN2at4cuda3cub6detail10OpaqueTypeILi8EEEEELb1EPKmPmPKSA_PSA_mNS0_19identity_decomposerEEEvT1_T2_T3_T4_jPT5_SO_PNS1_23onesweep_lookback_stateET6_jjj.num_agpr, 0
	.set _ZN7rocprim17ROCPRIM_304000_NS6detail25onesweep_iteration_kernelINS1_34wrapped_radix_sort_onesweep_configINS0_14default_configEmN2at4cuda3cub6detail10OpaqueTypeILi8EEEEELb1EPKmPmPKSA_PSA_mNS0_19identity_decomposerEEEvT1_T2_T3_T4_jPT5_SO_PNS1_23onesweep_lookback_stateET6_jjj.numbered_sgpr, 52
	.set _ZN7rocprim17ROCPRIM_304000_NS6detail25onesweep_iteration_kernelINS1_34wrapped_radix_sort_onesweep_configINS0_14default_configEmN2at4cuda3cub6detail10OpaqueTypeILi8EEEEELb1EPKmPmPKSA_PSA_mNS0_19identity_decomposerEEEvT1_T2_T3_T4_jPT5_SO_PNS1_23onesweep_lookback_stateET6_jjj.num_named_barrier, 0
	.set _ZN7rocprim17ROCPRIM_304000_NS6detail25onesweep_iteration_kernelINS1_34wrapped_radix_sort_onesweep_configINS0_14default_configEmN2at4cuda3cub6detail10OpaqueTypeILi8EEEEELb1EPKmPmPKSA_PSA_mNS0_19identity_decomposerEEEvT1_T2_T3_T4_jPT5_SO_PNS1_23onesweep_lookback_stateET6_jjj.private_seg_size, 0
	.set _ZN7rocprim17ROCPRIM_304000_NS6detail25onesweep_iteration_kernelINS1_34wrapped_radix_sort_onesweep_configINS0_14default_configEmN2at4cuda3cub6detail10OpaqueTypeILi8EEEEELb1EPKmPmPKSA_PSA_mNS0_19identity_decomposerEEEvT1_T2_T3_T4_jPT5_SO_PNS1_23onesweep_lookback_stateET6_jjj.uses_vcc, 1
	.set _ZN7rocprim17ROCPRIM_304000_NS6detail25onesweep_iteration_kernelINS1_34wrapped_radix_sort_onesweep_configINS0_14default_configEmN2at4cuda3cub6detail10OpaqueTypeILi8EEEEELb1EPKmPmPKSA_PSA_mNS0_19identity_decomposerEEEvT1_T2_T3_T4_jPT5_SO_PNS1_23onesweep_lookback_stateET6_jjj.uses_flat_scratch, 0
	.set _ZN7rocprim17ROCPRIM_304000_NS6detail25onesweep_iteration_kernelINS1_34wrapped_radix_sort_onesweep_configINS0_14default_configEmN2at4cuda3cub6detail10OpaqueTypeILi8EEEEELb1EPKmPmPKSA_PSA_mNS0_19identity_decomposerEEEvT1_T2_T3_T4_jPT5_SO_PNS1_23onesweep_lookback_stateET6_jjj.has_dyn_sized_stack, 0
	.set _ZN7rocprim17ROCPRIM_304000_NS6detail25onesweep_iteration_kernelINS1_34wrapped_radix_sort_onesweep_configINS0_14default_configEmN2at4cuda3cub6detail10OpaqueTypeILi8EEEEELb1EPKmPmPKSA_PSA_mNS0_19identity_decomposerEEEvT1_T2_T3_T4_jPT5_SO_PNS1_23onesweep_lookback_stateET6_jjj.has_recursion, 0
	.set _ZN7rocprim17ROCPRIM_304000_NS6detail25onesweep_iteration_kernelINS1_34wrapped_radix_sort_onesweep_configINS0_14default_configEmN2at4cuda3cub6detail10OpaqueTypeILi8EEEEELb1EPKmPmPKSA_PSA_mNS0_19identity_decomposerEEEvT1_T2_T3_T4_jPT5_SO_PNS1_23onesweep_lookback_stateET6_jjj.has_indirect_call, 0
	.section	.AMDGPU.csdata,"",@progbits
; Kernel info:
; codeLenInByte = 10012
; TotalNumSgprs: 58
; NumVgprs: 42
; NumAgprs: 0
; TotalNumVgprs: 42
; ScratchSize: 0
; MemoryBound: 1
; FloatMode: 240
; IeeeMode: 1
; LDSByteSize: 49664 bytes/workgroup (compile time only)
; SGPRBlocks: 7
; VGPRBlocks: 5
; NumSGPRsForWavesPerEU: 58
; NumVGPRsForWavesPerEU: 42
; AccumOffset: 44
; Occupancy: 8
; WaveLimiterHint : 1
; COMPUTE_PGM_RSRC2:SCRATCH_EN: 0
; COMPUTE_PGM_RSRC2:USER_SGPR: 2
; COMPUTE_PGM_RSRC2:TRAP_HANDLER: 0
; COMPUTE_PGM_RSRC2:TGID_X_EN: 1
; COMPUTE_PGM_RSRC2:TGID_Y_EN: 0
; COMPUTE_PGM_RSRC2:TGID_Z_EN: 0
; COMPUTE_PGM_RSRC2:TIDIG_COMP_CNT: 2
; COMPUTE_PGM_RSRC3_GFX90A:ACCUM_OFFSET: 10
; COMPUTE_PGM_RSRC3_GFX90A:TG_SPLIT: 0
	.section	.text._ZN7rocprim17ROCPRIM_304000_NS6detail25onesweep_iteration_kernelINS1_34wrapped_radix_sort_onesweep_configINS0_14default_configEmN2at4cuda3cub6detail10OpaqueTypeILi8EEEEELb1EPmSC_PSA_SD_mNS0_19identity_decomposerEEEvT1_T2_T3_T4_jPT5_SK_PNS1_23onesweep_lookback_stateET6_jjj,"axG",@progbits,_ZN7rocprim17ROCPRIM_304000_NS6detail25onesweep_iteration_kernelINS1_34wrapped_radix_sort_onesweep_configINS0_14default_configEmN2at4cuda3cub6detail10OpaqueTypeILi8EEEEELb1EPmSC_PSA_SD_mNS0_19identity_decomposerEEEvT1_T2_T3_T4_jPT5_SK_PNS1_23onesweep_lookback_stateET6_jjj,comdat
	.protected	_ZN7rocprim17ROCPRIM_304000_NS6detail25onesweep_iteration_kernelINS1_34wrapped_radix_sort_onesweep_configINS0_14default_configEmN2at4cuda3cub6detail10OpaqueTypeILi8EEEEELb1EPmSC_PSA_SD_mNS0_19identity_decomposerEEEvT1_T2_T3_T4_jPT5_SK_PNS1_23onesweep_lookback_stateET6_jjj ; -- Begin function _ZN7rocprim17ROCPRIM_304000_NS6detail25onesweep_iteration_kernelINS1_34wrapped_radix_sort_onesweep_configINS0_14default_configEmN2at4cuda3cub6detail10OpaqueTypeILi8EEEEELb1EPmSC_PSA_SD_mNS0_19identity_decomposerEEEvT1_T2_T3_T4_jPT5_SK_PNS1_23onesweep_lookback_stateET6_jjj
	.globl	_ZN7rocprim17ROCPRIM_304000_NS6detail25onesweep_iteration_kernelINS1_34wrapped_radix_sort_onesweep_configINS0_14default_configEmN2at4cuda3cub6detail10OpaqueTypeILi8EEEEELb1EPmSC_PSA_SD_mNS0_19identity_decomposerEEEvT1_T2_T3_T4_jPT5_SK_PNS1_23onesweep_lookback_stateET6_jjj
	.p2align	8
	.type	_ZN7rocprim17ROCPRIM_304000_NS6detail25onesweep_iteration_kernelINS1_34wrapped_radix_sort_onesweep_configINS0_14default_configEmN2at4cuda3cub6detail10OpaqueTypeILi8EEEEELb1EPmSC_PSA_SD_mNS0_19identity_decomposerEEEvT1_T2_T3_T4_jPT5_SK_PNS1_23onesweep_lookback_stateET6_jjj,@function
_ZN7rocprim17ROCPRIM_304000_NS6detail25onesweep_iteration_kernelINS1_34wrapped_radix_sort_onesweep_configINS0_14default_configEmN2at4cuda3cub6detail10OpaqueTypeILi8EEEEELb1EPmSC_PSA_SD_mNS0_19identity_decomposerEEEvT1_T2_T3_T4_jPT5_SK_PNS1_23onesweep_lookback_stateET6_jjj: ; @_ZN7rocprim17ROCPRIM_304000_NS6detail25onesweep_iteration_kernelINS1_34wrapped_radix_sort_onesweep_configINS0_14default_configEmN2at4cuda3cub6detail10OpaqueTypeILi8EEEEELb1EPmSC_PSA_SD_mNS0_19identity_decomposerEEEvT1_T2_T3_T4_jPT5_SK_PNS1_23onesweep_lookback_stateET6_jjj
; %bb.0:
	s_load_dwordx4 s[44:47], s[0:1], 0x44
	s_load_dwordx8 s[36:43], s[0:1], 0x0
	s_load_dwordx4 s[28:31], s[0:1], 0x28
	s_load_dwordx2 s[34:35], s[0:1], 0x38
	s_mov_b64 s[4:5], -1
	s_waitcnt lgkmcnt(0)
	s_cmp_ge_u32 s2, s46
	s_mul_i32 s48, s2, 0x1800
	v_mbcnt_lo_u32_b32 v1, -1, 0
	s_cbranch_scc0 .LBB15_96
; %bb.1:
	s_load_dword s3, s[0:1], 0x20
	s_mul_i32 s4, s46, 0xffffe800
	s_mov_b32 s49, 0
	s_lshl_b64 s[46:47], s[48:49], 3
	v_mbcnt_hi_u32_b32 v9, -1, v1
	s_waitcnt lgkmcnt(0)
	s_add_i32 s49, s4, s3
	s_add_u32 s4, s36, s46
	v_and_b32_e32 v2, 0x3c0, v0
	s_addc_u32 s5, s37, s47
	v_mul_u32_u24_e32 v8, 6, v2
	v_mov_b32_e32 v5, 0
	v_lshlrev_b32_e32 v4, 3, v9
	v_lshl_add_u64 v[2:3], s[4:5], 0, v[4:5]
	v_lshlrev_b32_e32 v6, 3, v8
	v_mov_b32_e32 v7, v5
	v_or_b32_e32 v5, v9, v8
	v_lshl_add_u64 v[2:3], v[2:3], 0, v[6:7]
	v_cmp_gt_u32_e32 vcc, s49, v5
	v_mov_b64_e32 v[10:11], -1
	v_mov_b64_e32 v[12:13], -1
	s_and_saveexec_b64 s[4:5], vcc
	s_cbranch_execz .LBB15_3
; %bb.2:
	global_load_dwordx2 v[12:13], v[2:3], off
	s_waitcnt vmcnt(0)
	v_not_b32_e32 v13, v13
	v_not_b32_e32 v12, v12
.LBB15_3:
	s_or_b64 exec, exec, s[4:5]
	v_add_u32_e32 v7, 64, v5
	v_cmp_gt_u32_e64 s[26:27], s49, v7
	s_and_saveexec_b64 s[4:5], s[26:27]
	s_cbranch_execz .LBB15_5
; %bb.4:
	global_load_dwordx2 v[10:11], v[2:3], off offset:512
	s_waitcnt vmcnt(0)
	v_not_b32_e32 v11, v11
	v_not_b32_e32 v10, v10
.LBB15_5:
	s_or_b64 exec, exec, s[4:5]
	v_add_u32_e32 v7, 0x80, v5
	v_cmp_gt_u32_e64 s[4:5], s49, v7
	v_mov_b64_e32 v[14:15], -1
	v_mov_b64_e32 v[16:17], -1
	s_and_saveexec_b64 s[6:7], s[4:5]
	s_cbranch_execz .LBB15_7
; %bb.6:
	global_load_dwordx2 v[16:17], v[2:3], off offset:1024
	s_waitcnt vmcnt(0)
	v_not_b32_e32 v17, v17
	v_not_b32_e32 v16, v16
.LBB15_7:
	s_or_b64 exec, exec, s[6:7]
	v_add_u32_e32 v7, 0xc0, v5
	v_cmp_gt_u32_e64 s[6:7], s49, v7
	s_and_saveexec_b64 s[8:9], s[6:7]
	s_cbranch_execz .LBB15_9
; %bb.8:
	global_load_dwordx2 v[14:15], v[2:3], off offset:1536
	s_waitcnt vmcnt(0)
	v_not_b32_e32 v15, v15
	v_not_b32_e32 v14, v14
.LBB15_9:
	s_or_b64 exec, exec, s[8:9]
	v_add_u32_e32 v7, 0x100, v5
	v_cmp_gt_u32_e64 s[8:9], s49, v7
	v_mov_b64_e32 v[18:19], -1
	v_mov_b64_e32 v[20:21], -1
	s_and_saveexec_b64 s[10:11], s[8:9]
	s_cbranch_execz .LBB15_11
; %bb.10:
	global_load_dwordx2 v[20:21], v[2:3], off offset:2048
	s_waitcnt vmcnt(0)
	v_not_b32_e32 v21, v21
	v_not_b32_e32 v20, v20
.LBB15_11:
	s_or_b64 exec, exec, s[10:11]
	v_add_u32_e32 v5, 0x140, v5
	v_and_b32_e32 v8, 0x3ff, v0
	v_cmp_gt_u32_e64 s[10:11], s49, v5
	s_and_saveexec_b64 s[12:13], s[10:11]
	s_cbranch_execz .LBB15_13
; %bb.12:
	global_load_dwordx2 v[2:3], v[2:3], off offset:2560
	s_waitcnt vmcnt(0)
	v_not_b32_e32 v19, v3
	v_not_b32_e32 v18, v2
.LBB15_13:
	s_or_b64 exec, exec, s[12:13]
	s_load_dword s12, s[0:1], 0x5c
	s_load_dword s3, s[0:1], 0x50
	s_add_u32 s13, s0, 0x50
	s_addc_u32 s14, s1, 0
	v_mov_b32_e32 v22, 0
	s_waitcnt lgkmcnt(0)
	s_lshr_b32 s15, s12, 16
	s_cmp_lt_u32 s2, s3
	s_cselect_b32 s12, 12, 18
	s_add_u32 s12, s13, s12
	s_addc_u32 s13, s14, 0
	global_load_ushort v5, v22, s[12:13]
	v_bfe_u32 v3, v0, 10, 10
	v_bfe_u32 v7, v0, 20, 10
	v_lshrrev_b64 v[24:25], s44, v[12:13]
	s_lshl_b32 s12, -1, s45
	v_lshlrev_b32_e32 v2, 3, v8
	v_mov_b32_e32 v23, v22
	v_mad_u32_u24 v7, v7, s15, v3
	v_bitop3_b32 v3, v24, s12, v24 bitop3:0x30
	v_mov_b32_e32 v25, v22
	ds_write_b64 v2, v[22:23] offset:64
	v_and_b32_e32 v24, 1, v3
	v_lshlrev_b32_e32 v23, 30, v3
	s_not_b32 s33, s12
	v_lshl_add_u64 v[26:27], v[24:25], 0, -1
	v_cmp_ne_u32_e64 s[12:13], 0, v24
	v_cmp_gt_i64_e64 s[14:15], 0, v[22:23]
	v_not_b32_e32 v24, v23
	v_lshlrev_b32_e32 v23, 29, v3
	v_xor_b32_e32 v25, s13, v27
	v_xor_b32_e32 v26, s12, v26
	v_ashrrev_i32_e32 v24, 31, v24
	v_cmp_gt_i64_e64 s[12:13], 0, v[22:23]
	v_not_b32_e32 v27, v23
	v_lshlrev_b32_e32 v23, 28, v3
	v_and_b32_e32 v25, exec_hi, v25
	v_and_b32_e32 v26, exec_lo, v26
	v_xor_b32_e32 v29, s15, v24
	v_xor_b32_e32 v24, s14, v24
	v_ashrrev_i32_e32 v27, 31, v27
	v_cmp_gt_i64_e64 s[14:15], 0, v[22:23]
	v_not_b32_e32 v30, v23
	v_lshlrev_b32_e32 v23, 27, v3
	s_movk_i32 s16, 0x44
	v_and_b32_e32 v25, v25, v29
	v_and_b32_e32 v24, v26, v24
	v_xor_b32_e32 v26, s13, v27
	v_xor_b32_e32 v27, s12, v27
	v_ashrrev_i32_e32 v29, 31, v30
	v_cmp_gt_i64_e64 s[12:13], 0, v[22:23]
	v_not_b32_e32 v30, v23
	v_lshlrev_b32_e32 v23, 26, v3
	v_mul_lo_u32 v28, v3, s16
	v_and_b32_e32 v3, v25, v26
	v_and_b32_e32 v24, v24, v27
	v_xor_b32_e32 v25, s15, v29
	v_xor_b32_e32 v26, s14, v29
	v_ashrrev_i32_e32 v27, 31, v30
	v_cmp_gt_i64_e64 s[14:15], 0, v[22:23]
	v_not_b32_e32 v23, v23
	v_and_b32_e32 v3, v3, v25
	v_and_b32_e32 v24, v24, v26
	v_xor_b32_e32 v25, s13, v27
	v_xor_b32_e32 v26, s12, v27
	v_ashrrev_i32_e32 v23, 31, v23
	v_and_b32_e32 v3, v3, v25
	v_and_b32_e32 v24, v24, v26
	v_xor_b32_e32 v25, s15, v23
	v_xor_b32_e32 v23, s14, v23
	v_and_b32_e32 v24, v24, v23
	v_and_b32_e32 v25, v3, v25
	v_mbcnt_lo_u32_b32 v3, v24, 0
	v_mbcnt_hi_u32_b32 v3, v25, v3
	v_cmp_ne_u64_e64 s[12:13], 0, v[24:25]
	v_cmp_eq_u32_e64 s[14:15], 0, v3
	s_and_b64 s[14:15], s[12:13], s[14:15]
	s_waitcnt lgkmcnt(0)
	s_barrier
	s_waitcnt vmcnt(0)
	; wave barrier
	v_mad_u64_u32 v[26:27], s[18:19], v7, v5, v[8:9]
	v_lshrrev_b32_e32 v32, 6, v26
	v_lshl_add_u32 v7, v32, 2, v28
	s_and_saveexec_b64 s[12:13], s[14:15]
; %bb.14:
	v_bcnt_u32_b32 v5, v24, 0
	v_bcnt_u32_b32 v5, v25, v5
	ds_write_b32 v7, v5 offset:64
; %bb.15:
	s_or_b64 exec, exec, s[12:13]
	v_lshrrev_b64 v[24:25], s44, v[10:11]
	v_and_b32_e32 v27, s33, v24
	v_and_b32_e32 v24, 1, v27
	v_mov_b32_e32 v25, v22
	v_lshl_add_u64 v[28:29], v[24:25], 0, -1
	v_cmp_ne_u32_e64 s[12:13], 0, v24
	v_mul_lo_u32 v5, v27, s16
	v_lshl_add_u32 v26, v32, 2, v5
	v_xor_b32_e32 v23, s13, v29
	v_and_b32_e32 v25, exec_hi, v23
	v_lshlrev_b32_e32 v23, 30, v27
	v_xor_b32_e32 v24, s12, v28
	v_cmp_gt_i64_e64 s[12:13], 0, v[22:23]
	v_not_b32_e32 v23, v23
	v_ashrrev_i32_e32 v23, 31, v23
	v_and_b32_e32 v24, exec_lo, v24
	v_xor_b32_e32 v28, s13, v23
	v_xor_b32_e32 v23, s12, v23
	v_and_b32_e32 v24, v24, v23
	v_lshlrev_b32_e32 v23, 29, v27
	v_cmp_gt_i64_e64 s[12:13], 0, v[22:23]
	v_not_b32_e32 v23, v23
	v_ashrrev_i32_e32 v23, 31, v23
	v_and_b32_e32 v25, v25, v28
	v_xor_b32_e32 v28, s13, v23
	v_xor_b32_e32 v23, s12, v23
	v_and_b32_e32 v24, v24, v23
	v_lshlrev_b32_e32 v23, 28, v27
	v_cmp_gt_i64_e64 s[12:13], 0, v[22:23]
	v_not_b32_e32 v23, v23
	v_ashrrev_i32_e32 v23, 31, v23
	v_and_b32_e32 v25, v25, v28
	;; [unrolled: 8-line block ×3, first 2 shown]
	v_xor_b32_e32 v28, s13, v23
	v_xor_b32_e32 v23, s12, v23
	v_and_b32_e32 v24, v24, v23
	v_lshlrev_b32_e32 v23, 26, v27
	v_cmp_gt_i64_e64 s[12:13], 0, v[22:23]
	v_not_b32_e32 v22, v23
	v_ashrrev_i32_e32 v22, 31, v22
	v_xor_b32_e32 v23, s13, v22
	v_xor_b32_e32 v22, s12, v22
	; wave barrier
	ds_read_b32 v5, v26 offset:64
	v_and_b32_e32 v25, v25, v28
	v_and_b32_e32 v22, v24, v22
	;; [unrolled: 1-line block ×3, first 2 shown]
	v_mbcnt_lo_u32_b32 v24, v22, 0
	v_mbcnt_hi_u32_b32 v27, v23, v24
	v_cmp_eq_u32_e64 s[12:13], 0, v27
	v_cmp_ne_u64_e64 s[14:15], 0, v[22:23]
	s_and_b64 s[14:15], s[14:15], s[12:13]
	; wave barrier
	s_and_saveexec_b64 s[12:13], s[14:15]
	s_cbranch_execz .LBB15_17
; %bb.16:
	v_bcnt_u32_b32 v22, v22, 0
	v_bcnt_u32_b32 v22, v23, v22
	s_waitcnt lgkmcnt(0)
	v_add_u32_e32 v22, v5, v22
	ds_write_b32 v26, v22 offset:64
.LBB15_17:
	s_or_b64 exec, exec, s[12:13]
	v_lshrrev_b64 v[22:23], s44, v[16:17]
	v_and_b32_e32 v30, s33, v22
	v_mul_lo_u32 v22, v30, s16
	v_lshl_add_u32 v29, v32, 2, v22
	v_and_b32_e32 v22, 1, v30
	v_mov_b32_e32 v23, 0
	v_lshl_add_u64 v[24:25], v[22:23], 0, -1
	v_cmp_ne_u32_e64 s[12:13], 0, v22
	; wave barrier
	s_nop 1
	v_xor_b32_e32 v24, s12, v24
	v_xor_b32_e32 v22, s13, v25
	v_and_b32_e32 v31, exec_lo, v24
	v_lshlrev_b32_e32 v25, 30, v30
	v_mov_b32_e32 v24, v23
	v_cmp_gt_i64_e64 s[12:13], 0, v[24:25]
	v_not_b32_e32 v24, v25
	v_ashrrev_i32_e32 v24, 31, v24
	v_and_b32_e32 v22, exec_hi, v22
	v_xor_b32_e32 v25, s13, v24
	v_xor_b32_e32 v24, s12, v24
	v_and_b32_e32 v22, v22, v25
	v_and_b32_e32 v31, v31, v24
	v_lshlrev_b32_e32 v25, 29, v30
	v_mov_b32_e32 v24, v23
	v_cmp_gt_i64_e64 s[12:13], 0, v[24:25]
	v_not_b32_e32 v24, v25
	v_ashrrev_i32_e32 v24, 31, v24
	v_xor_b32_e32 v25, s13, v24
	v_xor_b32_e32 v24, s12, v24
	v_and_b32_e32 v22, v22, v25
	v_and_b32_e32 v31, v31, v24
	v_lshlrev_b32_e32 v25, 28, v30
	v_mov_b32_e32 v24, v23
	v_cmp_gt_i64_e64 s[12:13], 0, v[24:25]
	v_not_b32_e32 v24, v25
	v_ashrrev_i32_e32 v24, 31, v24
	;; [unrolled: 9-line block ×4, first 2 shown]
	v_xor_b32_e32 v25, s13, v24
	v_xor_b32_e32 v24, s12, v24
	ds_read_b32 v28, v29 offset:64
	v_and_b32_e32 v24, v31, v24
	v_and_b32_e32 v25, v22, v25
	v_mbcnt_lo_u32_b32 v22, v24, 0
	v_mbcnt_hi_u32_b32 v30, v25, v22
	v_cmp_eq_u32_e64 s[12:13], 0, v30
	v_cmp_ne_u64_e64 s[14:15], 0, v[24:25]
	s_and_b64 s[14:15], s[14:15], s[12:13]
	; wave barrier
	s_and_saveexec_b64 s[12:13], s[14:15]
	s_cbranch_execz .LBB15_19
; %bb.18:
	v_bcnt_u32_b32 v22, v24, 0
	v_bcnt_u32_b32 v22, v25, v22
	s_waitcnt lgkmcnt(0)
	v_add_u32_e32 v22, v28, v22
	ds_write_b32 v29, v22 offset:64
.LBB15_19:
	s_or_b64 exec, exec, s[12:13]
	v_lshrrev_b64 v[24:25], s44, v[14:15]
	v_and_b32_e32 v34, s33, v24
	v_mul_lo_u32 v22, v34, s16
	v_lshl_add_u32 v33, v32, 2, v22
	v_and_b32_e32 v22, 1, v34
	v_lshl_add_u64 v[24:25], v[22:23], 0, -1
	v_cmp_ne_u32_e64 s[12:13], 0, v22
	; wave barrier
	s_nop 1
	v_xor_b32_e32 v24, s12, v24
	v_xor_b32_e32 v22, s13, v25
	v_and_b32_e32 v35, exec_lo, v24
	v_lshlrev_b32_e32 v25, 30, v34
	v_mov_b32_e32 v24, v23
	v_cmp_gt_i64_e64 s[12:13], 0, v[24:25]
	v_not_b32_e32 v24, v25
	v_ashrrev_i32_e32 v24, 31, v24
	v_and_b32_e32 v22, exec_hi, v22
	v_xor_b32_e32 v25, s13, v24
	v_xor_b32_e32 v24, s12, v24
	v_and_b32_e32 v22, v22, v25
	v_and_b32_e32 v35, v35, v24
	v_lshlrev_b32_e32 v25, 29, v34
	v_mov_b32_e32 v24, v23
	v_cmp_gt_i64_e64 s[12:13], 0, v[24:25]
	v_not_b32_e32 v24, v25
	v_ashrrev_i32_e32 v24, 31, v24
	v_xor_b32_e32 v25, s13, v24
	v_xor_b32_e32 v24, s12, v24
	v_and_b32_e32 v22, v22, v25
	v_and_b32_e32 v35, v35, v24
	v_lshlrev_b32_e32 v25, 28, v34
	v_mov_b32_e32 v24, v23
	v_cmp_gt_i64_e64 s[12:13], 0, v[24:25]
	v_not_b32_e32 v24, v25
	v_ashrrev_i32_e32 v24, 31, v24
	;; [unrolled: 9-line block ×3, first 2 shown]
	v_xor_b32_e32 v25, s13, v24
	v_xor_b32_e32 v24, s12, v24
	v_and_b32_e32 v22, v22, v25
	v_lshlrev_b32_e32 v25, 26, v34
	v_and_b32_e32 v35, v35, v24
	v_mov_b32_e32 v24, v23
	v_not_b32_e32 v23, v25
	v_cmp_gt_i64_e64 s[12:13], 0, v[24:25]
	v_ashrrev_i32_e32 v23, 31, v23
	ds_read_b32 v31, v33 offset:64
	v_xor_b32_e32 v24, s13, v23
	v_xor_b32_e32 v25, s12, v23
	v_and_b32_e32 v23, v22, v24
	v_and_b32_e32 v22, v35, v25
	v_mbcnt_lo_u32_b32 v24, v22, 0
	v_mbcnt_hi_u32_b32 v34, v23, v24
	v_cmp_eq_u32_e64 s[12:13], 0, v34
	v_cmp_ne_u64_e64 s[14:15], 0, v[22:23]
	s_and_b64 s[14:15], s[14:15], s[12:13]
	; wave barrier
	s_and_saveexec_b64 s[12:13], s[14:15]
	s_cbranch_execz .LBB15_21
; %bb.20:
	v_bcnt_u32_b32 v22, v22, 0
	v_bcnt_u32_b32 v22, v23, v22
	s_waitcnt lgkmcnt(0)
	v_add_u32_e32 v22, v31, v22
	ds_write_b32 v33, v22 offset:64
.LBB15_21:
	s_or_b64 exec, exec, s[12:13]
	v_lshrrev_b64 v[22:23], s44, v[20:21]
	v_and_b32_e32 v37, s33, v22
	v_mul_lo_u32 v22, v37, s16
	v_lshl_add_u32 v36, v32, 2, v22
	v_and_b32_e32 v22, 1, v37
	v_mov_b32_e32 v23, 0
	v_lshl_add_u64 v[24:25], v[22:23], 0, -1
	v_cmp_ne_u32_e64 s[12:13], 0, v22
	; wave barrier
	s_nop 1
	v_xor_b32_e32 v24, s12, v24
	v_xor_b32_e32 v22, s13, v25
	v_and_b32_e32 v38, exec_lo, v24
	v_lshlrev_b32_e32 v25, 30, v37
	v_mov_b32_e32 v24, v23
	v_cmp_gt_i64_e64 s[12:13], 0, v[24:25]
	v_not_b32_e32 v24, v25
	v_ashrrev_i32_e32 v24, 31, v24
	v_and_b32_e32 v22, exec_hi, v22
	v_xor_b32_e32 v25, s13, v24
	v_xor_b32_e32 v24, s12, v24
	v_and_b32_e32 v22, v22, v25
	v_and_b32_e32 v38, v38, v24
	v_lshlrev_b32_e32 v25, 29, v37
	v_mov_b32_e32 v24, v23
	v_cmp_gt_i64_e64 s[12:13], 0, v[24:25]
	v_not_b32_e32 v24, v25
	v_ashrrev_i32_e32 v24, 31, v24
	v_xor_b32_e32 v25, s13, v24
	v_xor_b32_e32 v24, s12, v24
	v_and_b32_e32 v22, v22, v25
	v_and_b32_e32 v38, v38, v24
	v_lshlrev_b32_e32 v25, 28, v37
	v_mov_b32_e32 v24, v23
	v_cmp_gt_i64_e64 s[12:13], 0, v[24:25]
	v_not_b32_e32 v24, v25
	v_ashrrev_i32_e32 v24, 31, v24
	;; [unrolled: 9-line block ×4, first 2 shown]
	v_xor_b32_e32 v25, s13, v24
	v_xor_b32_e32 v24, s12, v24
	ds_read_b32 v35, v36 offset:64
	v_and_b32_e32 v24, v38, v24
	v_and_b32_e32 v25, v22, v25
	v_mbcnt_lo_u32_b32 v22, v24, 0
	v_mbcnt_hi_u32_b32 v37, v25, v22
	v_cmp_eq_u32_e64 s[12:13], 0, v37
	v_cmp_ne_u64_e64 s[14:15], 0, v[24:25]
	s_and_b64 s[14:15], s[14:15], s[12:13]
	; wave barrier
	s_and_saveexec_b64 s[12:13], s[14:15]
	s_cbranch_execz .LBB15_23
; %bb.22:
	v_bcnt_u32_b32 v22, v24, 0
	v_bcnt_u32_b32 v22, v25, v22
	s_waitcnt lgkmcnt(0)
	v_add_u32_e32 v22, v35, v22
	ds_write_b32 v36, v22 offset:64
.LBB15_23:
	s_or_b64 exec, exec, s[12:13]
	v_lshrrev_b64 v[24:25], s44, v[18:19]
	v_and_b32_e32 v25, s33, v24
	v_mul_lo_u32 v22, v25, s16
	v_lshl_add_u32 v24, v32, 2, v22
	v_and_b32_e32 v22, 1, v25
	v_lshl_add_u64 v[40:41], v[22:23], 0, -1
	v_cmp_ne_u32_e64 s[12:13], 0, v22
	; wave barrier
	s_nop 1
	v_xor_b32_e32 v22, s13, v41
	v_lshlrev_b32_e32 v41, 30, v25
	v_xor_b32_e32 v32, s12, v40
	v_mov_b32_e32 v40, v23
	v_not_b32_e32 v39, v41
	v_cmp_gt_i64_e64 s[12:13], 0, v[40:41]
	v_ashrrev_i32_e32 v39, 31, v39
	v_and_b32_e32 v22, exec_hi, v22
	v_and_b32_e32 v32, exec_lo, v32
	v_xor_b32_e32 v40, s13, v39
	v_xor_b32_e32 v39, s12, v39
	v_lshlrev_b32_e32 v41, 29, v25
	v_and_b32_e32 v22, v22, v40
	v_and_b32_e32 v32, v32, v39
	v_mov_b32_e32 v40, v23
	v_not_b32_e32 v39, v41
	v_cmp_gt_i64_e64 s[12:13], 0, v[40:41]
	v_ashrrev_i32_e32 v39, 31, v39
	v_lshlrev_b32_e32 v41, 28, v25
	v_xor_b32_e32 v40, s13, v39
	v_xor_b32_e32 v39, s12, v39
	v_and_b32_e32 v22, v22, v40
	v_and_b32_e32 v32, v32, v39
	v_mov_b32_e32 v40, v23
	v_not_b32_e32 v39, v41
	v_cmp_gt_i64_e64 s[12:13], 0, v[40:41]
	v_ashrrev_i32_e32 v39, 31, v39
	v_lshlrev_b32_e32 v41, 27, v25
	v_xor_b32_e32 v40, s13, v39
	v_xor_b32_e32 v39, s12, v39
	v_and_b32_e32 v22, v22, v40
	v_and_b32_e32 v32, v32, v39
	v_mov_b32_e32 v40, v23
	v_not_b32_e32 v39, v41
	v_cmp_gt_i64_e64 s[12:13], 0, v[40:41]
	v_ashrrev_i32_e32 v39, 31, v39
	v_lshlrev_b32_e32 v41, 26, v25
	v_xor_b32_e32 v40, s13, v39
	v_and_b32_e32 v22, v22, v40
	v_mov_b32_e32 v40, v23
	v_not_b32_e32 v23, v41
	v_xor_b32_e32 v39, s12, v39
	v_cmp_gt_i64_e64 s[12:13], 0, v[40:41]
	v_ashrrev_i32_e32 v23, 31, v23
	v_and_b32_e32 v32, v32, v39
	v_xor_b32_e32 v25, s13, v23
	v_xor_b32_e32 v39, s12, v23
	ds_read_b32 v38, v24 offset:64
	v_and_b32_e32 v23, v22, v25
	v_and_b32_e32 v22, v32, v39
	v_mbcnt_lo_u32_b32 v25, v22, 0
	v_mbcnt_hi_u32_b32 v39, v23, v25
	v_cmp_eq_u32_e64 s[12:13], 0, v39
	v_cmp_ne_u64_e64 s[14:15], 0, v[22:23]
	s_and_b64 s[14:15], s[14:15], s[12:13]
	; wave barrier
	s_and_saveexec_b64 s[12:13], s[14:15]
	s_cbranch_execz .LBB15_25
; %bb.24:
	v_bcnt_u32_b32 v22, v22, 0
	v_bcnt_u32_b32 v22, v23, v22
	s_waitcnt lgkmcnt(0)
	v_add_u32_e32 v22, v38, v22
	ds_write_b32 v24, v22 offset:64
.LBB15_25:
	s_or_b64 exec, exec, s[12:13]
	; wave barrier
	s_waitcnt lgkmcnt(0)
	s_barrier
	ds_read_b64 v[22:23], v2 offset:64
	v_and_b32_e32 v25, 15, v9
	v_cmp_eq_u32_e64 s[12:13], 0, v25
	v_cmp_lt_u32_e64 s[14:15], 1, v25
	v_cmp_lt_u32_e64 s[16:17], 3, v25
	s_waitcnt lgkmcnt(0)
	v_add_u32_e32 v23, v23, v22
	v_cmp_lt_u32_e64 s[18:19], 7, v25
	v_cmp_lt_u32_e64 s[20:21], 31, v9
	v_mov_b32_dpp v32, v23 row_shr:1 row_mask:0xf bank_mask:0xf
	v_cndmask_b32_e64 v32, v32, 0, s[12:13]
	v_add_u32_e32 v23, v32, v23
	s_nop 1
	v_mov_b32_dpp v32, v23 row_shr:2 row_mask:0xf bank_mask:0xf
	v_cndmask_b32_e64 v32, 0, v32, s[14:15]
	v_add_u32_e32 v23, v23, v32
	s_nop 1
	;; [unrolled: 4-line block ×3, first 2 shown]
	v_mov_b32_dpp v32, v23 row_shr:8 row_mask:0xf bank_mask:0xf
	v_cndmask_b32_e64 v25, 0, v32, s[18:19]
	v_add_u32_e32 v23, v23, v25
	v_bfe_i32 v32, v9, 4, 1
	s_nop 0
	v_mov_b32_dpp v25, v23 row_bcast:15 row_mask:0xf bank_mask:0xf
	v_and_b32_e32 v25, v32, v25
	v_add_u32_e32 v23, v23, v25
	v_and_b32_e32 v32, 63, v8
	s_nop 0
	v_mov_b32_dpp v25, v23 row_bcast:31 row_mask:0xf bank_mask:0xf
	v_cndmask_b32_e64 v25, 0, v25, s[20:21]
	v_add_u32_e32 v23, v23, v25
	v_lshrrev_b32_e32 v25, 6, v8
	v_cmp_eq_u32_e64 s[20:21], 63, v32
	s_and_saveexec_b64 s[22:23], s[20:21]
; %bb.26:
	v_lshlrev_b32_e32 v32, 2, v25
	ds_write_b32 v32, v23
; %bb.27:
	s_or_b64 exec, exec, s[22:23]
	v_cmp_gt_u32_e64 s[20:21], 16, v8
	s_waitcnt lgkmcnt(0)
	s_barrier
	s_and_saveexec_b64 s[22:23], s[20:21]
	s_cbranch_execz .LBB15_29
; %bb.28:
	v_lshlrev_b32_e32 v32, 2, v8
	ds_read_b32 v40, v32
	s_waitcnt lgkmcnt(0)
	s_nop 0
	v_mov_b32_dpp v41, v40 row_shr:1 row_mask:0xf bank_mask:0xf
	v_cndmask_b32_e64 v41, v41, 0, s[12:13]
	v_add_u32_e32 v40, v41, v40
	s_nop 1
	v_mov_b32_dpp v41, v40 row_shr:2 row_mask:0xf bank_mask:0xf
	v_cndmask_b32_e64 v41, 0, v41, s[14:15]
	v_add_u32_e32 v40, v40, v41
	;; [unrolled: 4-line block ×4, first 2 shown]
	ds_write_b32 v32, v40
.LBB15_29:
	s_or_b64 exec, exec, s[22:23]
	v_cmp_gt_u32_e64 s[14:15], 64, v8
	v_cmp_lt_u32_e64 s[12:13], 63, v8
	v_mov_b32_e32 v32, 0
	s_waitcnt lgkmcnt(0)
	s_barrier
	s_and_saveexec_b64 s[16:17], s[12:13]
; %bb.30:
	v_lshl_add_u32 v25, v25, 2, -4
	ds_read_b32 v32, v25
; %bb.31:
	s_or_b64 exec, exec, s[16:17]
	v_add_u32_e32 v25, -1, v9
	v_and_b32_e32 v40, 64, v9
	v_cmp_lt_i32_e64 s[16:17], v25, v40
	s_waitcnt lgkmcnt(0)
	v_add_u32_e32 v23, v32, v23
	v_cndmask_b32_e64 v25, v25, v9, s[16:17]
	v_lshlrev_b32_e32 v25, 2, v25
	ds_bpermute_b32 v23, v25, v23
	v_cmp_eq_u32_e64 s[16:17], 0, v9
	s_waitcnt lgkmcnt(0)
	s_nop 0
	v_cndmask_b32_e64 v9, v23, v32, s[16:17]
	v_cmp_ne_u32_e64 s[16:17], 0, v8
	s_nop 1
	v_cndmask_b32_e64 v40, 0, v9, s[16:17]
	v_add_u32_e32 v41, v40, v22
	ds_write_b64 v2, v[40:41] offset:64
	s_waitcnt lgkmcnt(0)
	s_barrier
	ds_read_b32 v25, v7 offset:64
	ds_read_b32 v32, v26 offset:64
	;; [unrolled: 1-line block ×6, first 2 shown]
	v_mov_b64_e32 v[22:23], 0
                                        ; implicit-def: $vgpr24
	s_and_saveexec_b64 s[18:19], s[14:15]
	s_cbranch_execz .LBB15_35
; %bb.32:
	v_mul_u32_u24_e32 v22, 0x44, v8
	ds_read_b32 v22, v22 offset:64
	v_add_u32_e32 v24, 1, v8
	v_cmp_ne_u32_e64 s[16:17], 64, v24
	v_mov_b32_e32 v23, 0x1800
	s_and_saveexec_b64 s[20:21], s[16:17]
; %bb.33:
	v_mul_u32_u24_e32 v23, 0x44, v24
	ds_read_b32 v23, v23 offset:64
; %bb.34:
	s_or_b64 exec, exec, s[20:21]
	s_waitcnt lgkmcnt(0)
	v_sub_u32_e32 v24, v23, v22
	v_mov_b32_e32 v23, 0
.LBB15_35:
	s_or_b64 exec, exec, s[18:19]
	v_lshlrev_b32_e32 v3, 3, v3
	s_waitcnt lgkmcnt(5)
	v_lshl_add_u32 v25, v25, 3, v3
	s_waitcnt lgkmcnt(0)
	s_barrier
	ds_write_b64 v25, v[12:13] offset:512
	v_lshlrev_b32_e32 v3, 3, v32
	v_lshlrev_b32_e32 v12, 3, v27
	;; [unrolled: 1-line block ×3, first 2 shown]
	v_add3_u32 v32, v3, v12, v5
	ds_write_b64 v32, v[10:11] offset:512
	v_lshlrev_b32_e32 v3, 3, v29
	v_lshlrev_b32_e32 v5, 3, v30
	v_lshlrev_b32_e32 v10, 3, v28
	v_add3_u32 v33, v3, v5, v10
	v_lshlrev_b32_e32 v3, 3, v26
	v_lshlrev_b32_e32 v5, 3, v34
	v_lshlrev_b32_e32 v10, 3, v31
	v_add3_u32 v34, v3, v5, v10
	;; [unrolled: 4-line block ×4, first 2 shown]
	v_mov_b32_e32 v11, 0
	ds_write_b64 v33, v[16:17] offset:512
	ds_write_b64 v34, v[14:15] offset:512
	;; [unrolled: 1-line block ×4, first 2 shown]
	s_waitcnt lgkmcnt(0)
	s_barrier
	s_and_saveexec_b64 s[16:17], s[14:15]
	s_cbranch_execz .LBB15_45
; %bb.36:
	v_lshl_add_u32 v10, s2, 6, v8
	v_lshl_add_u64 v[12:13], v[10:11], 2, s[34:35]
	v_or_b32_e32 v3, 2.0, v24
	global_store_dword v[12:13], v3, off sc1
	s_mov_b64 s[18:19], 0
	s_brev_b32 s24, -4
	s_mov_b32 s25, s2
	v_mov_b32_e32 v3, 0
                                        ; implicit-def: $sgpr14_sgpr15
	s_branch .LBB15_39
.LBB15_37:                              ;   in Loop: Header=BB15_39 Depth=1
	s_or_b64 exec, exec, s[22:23]
.LBB15_38:                              ;   in Loop: Header=BB15_39 Depth=1
	s_or_b64 exec, exec, s[20:21]
	v_and_b32_e32 v7, 0x3fffffff, v5
	v_add_u32_e32 v3, v7, v3
	v_cmp_gt_i32_e64 s[14:15], -2.0, v5
	s_and_b64 s[20:21], exec, s[14:15]
	s_or_b64 s[18:19], s[20:21], s[18:19]
	s_andn2_b64 exec, exec, s[18:19]
	s_cbranch_execz .LBB15_44
.LBB15_39:                              ; =>This Loop Header: Depth=1
                                        ;     Child Loop BB15_42 Depth 2
	s_or_b64 s[14:15], s[14:15], exec
	s_cmp_eq_u32 s25, 0
	s_cbranch_scc1 .LBB15_43
; %bb.40:                               ;   in Loop: Header=BB15_39 Depth=1
	s_add_i32 s25, s25, -1
	v_lshl_or_b32 v10, s25, 6, v8
	v_lshl_add_u64 v[14:15], v[10:11], 2, s[34:35]
	global_load_dword v5, v[14:15], off sc1
	s_waitcnt vmcnt(0)
	v_cmp_gt_u32_e64 s[14:15], 2.0, v5
	s_and_saveexec_b64 s[20:21], s[14:15]
	s_cbranch_execz .LBB15_38
; %bb.41:                               ;   in Loop: Header=BB15_39 Depth=1
	s_mov_b64 s[22:23], 0
.LBB15_42:                              ;   Parent Loop BB15_39 Depth=1
                                        ; =>  This Inner Loop Header: Depth=2
	global_load_dword v5, v[14:15], off sc1
	s_waitcnt vmcnt(0)
	v_cmp_lt_u32_e64 s[14:15], s24, v5
	s_or_b64 s[22:23], s[14:15], s[22:23]
	s_andn2_b64 exec, exec, s[22:23]
	s_cbranch_execnz .LBB15_42
	s_branch .LBB15_37
.LBB15_43:                              ;   in Loop: Header=BB15_39 Depth=1
                                        ; implicit-def: $sgpr25
	s_and_b64 s[20:21], exec, s[14:15]
	s_or_b64 s[18:19], s[20:21], s[18:19]
	s_andn2_b64 exec, exec, s[18:19]
	s_cbranch_execnz .LBB15_39
.LBB15_44:
	s_or_b64 exec, exec, s[18:19]
	v_add_u32_e32 v5, v3, v24
	v_or_b32_e32 v5, 0x80000000, v5
	global_store_dword v[12:13], v5, off sc1
	global_load_dwordx2 v[10:11], v2, s[28:29]
	v_sub_co_u32_e64 v12, s[14:15], v3, v22
	s_nop 1
	v_subb_co_u32_e64 v13, s[14:15], 0, v23, s[14:15]
	s_waitcnt vmcnt(0)
	v_lshl_add_u64 v[10:11], v[12:13], 0, v[10:11]
	ds_write_b64 v2, v[10:11]
.LBB15_45:
	s_or_b64 exec, exec, s[16:17]
	v_cmp_gt_u32_e64 s[14:15], s49, v8
	s_waitcnt lgkmcnt(0)
	s_barrier
	s_and_saveexec_b64 s[16:17], s[14:15]
	s_cbranch_execz .LBB15_47
; %bb.46:
	ds_read_b64 v[10:11], v2 offset:512
	s_waitcnt lgkmcnt(0)
	v_lshrrev_b64 v[12:13], s44, v[10:11]
	v_and_b32_e32 v3, s33, v12
	v_lshlrev_b32_e32 v3, 3, v3
	ds_read_b64 v[12:13], v3
	v_mov_b32_e32 v3, 0
	v_not_b32_e32 v11, v11
	v_not_b32_e32 v10, v10
	s_waitcnt lgkmcnt(0)
	v_lshl_add_u64 v[12:13], v[12:13], 3, s[38:39]
	v_lshl_add_u64 v[12:13], v[12:13], 0, v[2:3]
	global_store_dwordx2 v[12:13], v[10:11], off
.LBB15_47:
	s_or_b64 exec, exec, s[16:17]
	v_or_b32_e32 v3, 0x400, v8
	v_cmp_gt_u32_e64 s[16:17], s49, v3
	v_lshlrev_b32_e32 v10, 3, v3
	s_and_saveexec_b64 s[18:19], s[16:17]
	s_cbranch_execz .LBB15_49
; %bb.48:
	ds_read_b64 v[12:13], v2 offset:8704
	v_mov_b32_e32 v11, 0
	s_waitcnt lgkmcnt(0)
	v_lshrrev_b64 v[14:15], s44, v[12:13]
	v_and_b32_e32 v3, s33, v14
	v_lshlrev_b32_e32 v3, 3, v3
	ds_read_b64 v[14:15], v3
	v_not_b32_e32 v13, v13
	v_not_b32_e32 v12, v12
	s_waitcnt lgkmcnt(0)
	v_lshl_add_u64 v[14:15], v[14:15], 3, s[38:39]
	v_lshl_add_u64 v[14:15], v[14:15], 0, v[10:11]
	global_store_dwordx2 v[14:15], v[12:13], off
.LBB15_49:
	s_or_b64 exec, exec, s[18:19]
	v_or_b32_e32 v3, 0x800, v8
	v_cmp_gt_u32_e64 s[18:19], s49, v3
	v_lshlrev_b32_e32 v12, 3, v3
	s_and_saveexec_b64 s[20:21], s[18:19]
	s_cbranch_execz .LBB15_51
; %bb.50:
	ds_read_b64 v[14:15], v2 offset:16896
	v_mov_b32_e32 v13, 0
	s_waitcnt lgkmcnt(0)
	v_lshrrev_b64 v[16:17], s44, v[14:15]
	v_and_b32_e32 v3, s33, v16
	v_lshlrev_b32_e32 v3, 3, v3
	ds_read_b64 v[16:17], v3
	v_not_b32_e32 v15, v15
	v_not_b32_e32 v14, v14
	s_waitcnt lgkmcnt(0)
	v_lshl_add_u64 v[16:17], v[16:17], 3, s[38:39]
	v_lshl_add_u64 v[16:17], v[16:17], 0, v[12:13]
	global_store_dwordx2 v[16:17], v[14:15], off
.LBB15_51:
	;; [unrolled: 21-line block ×5, first 2 shown]
	s_or_b64 exec, exec, s[50:51]
	s_add_u32 s46, s40, s46
	s_addc_u32 s47, s41, s47
	v_mov_b32_e32 v5, 0
	v_lshl_add_u64 v[18:19], s[46:47], 0, v[4:5]
	v_mov_b32_e32 v7, v5
	v_lshl_add_u64 v[30:31], v[18:19], 0, v[6:7]
                                        ; implicit-def: $vgpr4_vgpr5
	s_and_saveexec_b64 s[46:47], vcc
	s_xor_b64 s[46:47], exec, s[46:47]
	s_cbranch_execz .LBB15_63
; %bb.58:
	global_load_dwordx2 v[4:5], v[30:31], off
	s_or_b64 exec, exec, s[46:47]
                                        ; implicit-def: $vgpr6_vgpr7
	s_and_saveexec_b64 s[46:47], s[26:27]
	s_cbranch_execnz .LBB15_64
.LBB15_59:
	s_or_b64 exec, exec, s[46:47]
                                        ; implicit-def: $vgpr18_vgpr19
	s_and_saveexec_b64 s[26:27], s[4:5]
	s_cbranch_execz .LBB15_65
.LBB15_60:
	global_load_dwordx2 v[18:19], v[30:31], off offset:1024
	s_or_b64 exec, exec, s[26:27]
                                        ; implicit-def: $vgpr20_vgpr21
	s_and_saveexec_b64 s[4:5], s[6:7]
	s_cbranch_execnz .LBB15_66
.LBB15_61:
	s_or_b64 exec, exec, s[4:5]
                                        ; implicit-def: $vgpr26_vgpr27
	s_and_saveexec_b64 s[4:5], s[8:9]
	s_cbranch_execz .LBB15_67
.LBB15_62:
	global_load_dwordx2 v[26:27], v[30:31], off offset:2048
	s_or_b64 exec, exec, s[4:5]
                                        ; implicit-def: $vgpr28_vgpr29
	s_and_saveexec_b64 s[4:5], s[10:11]
	s_cbranch_execnz .LBB15_68
	s_branch .LBB15_69
.LBB15_63:
	s_or_b64 exec, exec, s[46:47]
                                        ; implicit-def: $vgpr6_vgpr7
	s_and_saveexec_b64 s[46:47], s[26:27]
	s_cbranch_execz .LBB15_59
.LBB15_64:
	global_load_dwordx2 v[6:7], v[30:31], off offset:512
	s_or_b64 exec, exec, s[46:47]
                                        ; implicit-def: $vgpr18_vgpr19
	s_and_saveexec_b64 s[26:27], s[4:5]
	s_cbranch_execnz .LBB15_60
.LBB15_65:
	s_or_b64 exec, exec, s[26:27]
                                        ; implicit-def: $vgpr20_vgpr21
	s_and_saveexec_b64 s[4:5], s[6:7]
	s_cbranch_execz .LBB15_61
.LBB15_66:
	global_load_dwordx2 v[20:21], v[30:31], off offset:1536
	s_or_b64 exec, exec, s[4:5]
                                        ; implicit-def: $vgpr26_vgpr27
	s_and_saveexec_b64 s[4:5], s[8:9]
	s_cbranch_execnz .LBB15_62
.LBB15_67:
	s_or_b64 exec, exec, s[4:5]
                                        ; implicit-def: $vgpr28_vgpr29
	s_and_saveexec_b64 s[4:5], s[10:11]
	s_cbranch_execz .LBB15_69
.LBB15_68:
	global_load_dwordx2 v[28:29], v[30:31], off offset:2560
.LBB15_69:
	s_or_b64 exec, exec, s[4:5]
	v_mov_b32_e32 v11, 0
	v_mov_b32_e32 v3, 0
	s_and_saveexec_b64 s[4:5], s[14:15]
	s_cbranch_execz .LBB15_71
; %bb.70:
	ds_read_b64 v[30:31], v2 offset:512
	s_waitcnt lgkmcnt(0)
	v_lshrrev_b64 v[30:31], s44, v[30:31]
	v_and_b32_e32 v3, s33, v30
.LBB15_71:
	s_or_b64 exec, exec, s[4:5]
	s_and_saveexec_b64 s[4:5], s[16:17]
	s_cbranch_execz .LBB15_73
; %bb.72:
	ds_read_b64 v[30:31], v2 offset:8704
	s_waitcnt lgkmcnt(0)
	v_lshrrev_b64 v[30:31], s44, v[30:31]
	v_and_b32_e32 v11, s33, v30
.LBB15_73:
	s_or_b64 exec, exec, s[4:5]
	v_mov_b32_e32 v15, 0
	v_mov_b32_e32 v13, 0
	s_and_saveexec_b64 s[4:5], s[18:19]
	s_cbranch_execz .LBB15_75
; %bb.74:
	ds_read_b64 v[30:31], v2 offset:16896
	s_waitcnt lgkmcnt(0)
	v_lshrrev_b64 v[30:31], s44, v[30:31]
	v_and_b32_e32 v13, s33, v30
.LBB15_75:
	s_or_b64 exec, exec, s[4:5]
	s_and_saveexec_b64 s[4:5], s[20:21]
	s_cbranch_execz .LBB15_77
; %bb.76:
	ds_read_b64 v[30:31], v2 offset:25088
	s_waitcnt lgkmcnt(0)
	v_lshrrev_b64 v[30:31], s44, v[30:31]
	v_and_b32_e32 v15, s33, v30
.LBB15_77:
	;; [unrolled: 20-line block ×3, first 2 shown]
	s_or_b64 exec, exec, s[4:5]
	s_barrier
	s_waitcnt vmcnt(0)
	ds_write_b64 v25, v[4:5] offset:512
	ds_write_b64 v32, v[6:7] offset:512
	;; [unrolled: 1-line block ×6, first 2 shown]
	s_waitcnt lgkmcnt(0)
	s_barrier
	s_and_saveexec_b64 s[4:5], s[14:15]
	s_cbranch_execz .LBB15_87
; %bb.82:
	v_lshlrev_b32_e32 v3, 3, v3
	ds_read_b64 v[4:5], v3
	ds_read_b64 v[6:7], v2 offset:512
	v_mov_b32_e32 v3, 0
	s_waitcnt lgkmcnt(1)
	v_lshl_add_u64 v[4:5], v[4:5], 3, s[42:43]
	v_lshl_add_u64 v[4:5], v[4:5], 0, v[2:3]
	s_waitcnt lgkmcnt(0)
	global_store_dwordx2 v[4:5], v[6:7], off
	s_or_b64 exec, exec, s[4:5]
	s_and_saveexec_b64 s[4:5], s[16:17]
	s_cbranch_execnz .LBB15_88
.LBB15_83:
	s_or_b64 exec, exec, s[4:5]
	s_and_saveexec_b64 s[4:5], s[18:19]
	s_cbranch_execz .LBB15_89
.LBB15_84:
	v_lshlrev_b32_e32 v3, 3, v13
	ds_read_b64 v[4:5], v3
	ds_read_b64 v[6:7], v2 offset:16896
	v_mov_b32_e32 v13, 0
	s_waitcnt lgkmcnt(1)
	v_lshl_add_u64 v[4:5], v[4:5], 3, s[42:43]
	v_lshl_add_u64 v[4:5], v[4:5], 0, v[12:13]
	s_waitcnt lgkmcnt(0)
	global_store_dwordx2 v[4:5], v[6:7], off
	s_or_b64 exec, exec, s[4:5]
	s_and_saveexec_b64 s[4:5], s[20:21]
	s_cbranch_execnz .LBB15_90
.LBB15_85:
	s_or_b64 exec, exec, s[4:5]
	s_and_saveexec_b64 s[4:5], s[22:23]
	s_cbranch_execz .LBB15_91
.LBB15_86:
	v_lshlrev_b32_e32 v3, 3, v17
	ds_read_b64 v[4:5], v3
	ds_read_b64 v[6:7], v2 offset:33280
	v_mov_b32_e32 v17, 0
	s_waitcnt lgkmcnt(1)
	v_lshl_add_u64 v[4:5], v[4:5], 3, s[42:43]
	v_lshl_add_u64 v[4:5], v[4:5], 0, v[16:17]
	s_waitcnt lgkmcnt(0)
	global_store_dwordx2 v[4:5], v[6:7], off
	s_or_b64 exec, exec, s[4:5]
	s_and_saveexec_b64 s[4:5], s[24:25]
	s_cbranch_execnz .LBB15_92
	s_branch .LBB15_93
.LBB15_87:
	s_or_b64 exec, exec, s[4:5]
	s_and_saveexec_b64 s[4:5], s[16:17]
	s_cbranch_execz .LBB15_83
.LBB15_88:
	v_lshlrev_b32_e32 v3, 3, v11
	ds_read_b64 v[4:5], v3
	ds_read_b64 v[6:7], v2 offset:8704
	v_mov_b32_e32 v11, 0
	s_waitcnt lgkmcnt(1)
	v_lshl_add_u64 v[4:5], v[4:5], 3, s[42:43]
	v_lshl_add_u64 v[4:5], v[4:5], 0, v[10:11]
	s_waitcnt lgkmcnt(0)
	global_store_dwordx2 v[4:5], v[6:7], off
	s_or_b64 exec, exec, s[4:5]
	s_and_saveexec_b64 s[4:5], s[18:19]
	s_cbranch_execnz .LBB15_84
.LBB15_89:
	s_or_b64 exec, exec, s[4:5]
	s_and_saveexec_b64 s[4:5], s[20:21]
	s_cbranch_execz .LBB15_85
.LBB15_90:
	v_lshlrev_b32_e32 v3, 3, v15
	ds_read_b64 v[4:5], v3
	ds_read_b64 v[6:7], v2 offset:25088
	v_mov_b32_e32 v15, 0
	s_waitcnt lgkmcnt(1)
	v_lshl_add_u64 v[4:5], v[4:5], 3, s[42:43]
	v_lshl_add_u64 v[4:5], v[4:5], 0, v[14:15]
	s_waitcnt lgkmcnt(0)
	global_store_dwordx2 v[4:5], v[6:7], off
	s_or_b64 exec, exec, s[4:5]
	s_and_saveexec_b64 s[4:5], s[22:23]
	s_cbranch_execnz .LBB15_86
.LBB15_91:
	s_or_b64 exec, exec, s[4:5]
	s_and_saveexec_b64 s[4:5], s[24:25]
	s_cbranch_execz .LBB15_93
.LBB15_92:
	v_lshlrev_b32_e32 v3, 3, v9
	ds_read_b64 v[4:5], v3
	ds_read_b64 v[6:7], v2 offset:41472
	v_mov_b32_e32 v9, 0
	s_waitcnt lgkmcnt(1)
	v_lshl_add_u64 v[4:5], v[4:5], 3, s[42:43]
	v_lshl_add_u64 v[4:5], v[4:5], 0, v[8:9]
	s_waitcnt lgkmcnt(0)
	global_store_dwordx2 v[4:5], v[6:7], off
.LBB15_93:
	s_or_b64 exec, exec, s[4:5]
	s_add_i32 s3, s3, -1
	s_cmp_eq_u32 s2, s3
	s_cselect_b64 s[4:5], -1, 0
	s_xor_b64 s[6:7], s[12:13], -1
	s_and_b64 s[6:7], s[6:7], s[4:5]
	s_and_saveexec_b64 s[4:5], s[6:7]
	s_cbranch_execz .LBB15_95
; %bb.94:
	ds_read_b64 v[4:5], v2
	v_mov_b32_e32 v25, 0
	v_lshl_add_u64 v[6:7], v[22:23], 0, v[24:25]
	s_waitcnt lgkmcnt(0)
	v_lshl_add_u64 v[4:5], v[6:7], 0, v[4:5]
	global_store_dwordx2 v2, v[4:5], s[30:31]
.LBB15_95:
	s_or_b64 exec, exec, s[4:5]
	s_mov_b64 s[4:5], 0
.LBB15_96:
	s_and_b64 vcc, exec, s[4:5]
	s_cbranch_vccz .LBB15_131
; %bb.97:
	s_mov_b32 s49, 0
	s_lshl_b64 s[10:11], s[48:49], 3
	s_add_u32 s4, s36, s10
	v_mbcnt_hi_u32_b32 v1, -1, v1
	v_and_b32_e32 v2, 0x3c0, v0
	v_mov_b32_e32 v13, 0
	s_addc_u32 s5, s37, s11
	v_mul_u32_u24_e32 v4, 6, v2
	v_lshlrev_b32_e32 v2, 3, v1
	v_mov_b32_e32 v3, v13
	v_lshl_add_u64 v[6:7], s[4:5], 0, v[2:3]
	v_lshlrev_b32_e32 v4, 3, v4
	v_mov_b32_e32 v5, v13
	v_lshl_add_u64 v[8:9], v[6:7], 0, v[4:5]
	global_load_dwordx2 v[22:23], v[8:9], off
	s_load_dword s4, s[0:1], 0x5c
	s_load_dword s3, s[0:1], 0x50
	s_add_u32 s0, s0, 0x50
	s_addc_u32 s1, s1, 0
	v_and_b32_e32 v6, 0x3ff, v0
	s_waitcnt lgkmcnt(0)
	s_lshr_b32 s4, s4, 16
	s_cmp_lt_u32 s2, s3
	s_cselect_b32 s5, 12, 18
	s_add_u32 s0, s0, s5
	s_addc_u32 s1, s1, 0
	global_load_ushort v3, v13, s[0:1]
	global_load_dwordx2 v[10:11], v[8:9], off offset:512
	global_load_dwordx2 v[20:21], v[8:9], off offset:1024
	;; [unrolled: 1-line block ×5, first 2 shown]
	v_bfe_u32 v5, v0, 10, 10
	v_bfe_u32 v7, v0, 20, 10
	s_lshl_b32 s0, -1, s45
	v_lshlrev_b32_e32 v0, 3, v6
	v_mov_b32_e32 v12, v13
	v_mad_u32_u24 v5, v7, s4, v5
	ds_write_b64 v0, v[12:13] offset:64
	v_mov_b32_e32 v24, v13
	s_not_b32 s14, s0
	s_movk_i32 s12, 0x44
	v_mov_b32_e32 v26, v13
	v_mov_b32_e32 v28, v13
	;; [unrolled: 1-line block ×4, first 2 shown]
	s_waitcnt lgkmcnt(0)
	s_barrier
	s_waitcnt vmcnt(6)
	; wave barrier
	v_not_b32_e32 v9, v23
	v_not_b32_e32 v8, v22
	v_lshrrev_b64 v[22:23], s44, v[8:9]
	v_bitop3_b32 v7, v22, s0, v22 bitop3:0x30
	v_and_b32_e32 v12, 1, v7
	v_lshlrev_b32_e32 v25, 30, v7
	v_lshlrev_b32_e32 v27, 29, v7
	v_lshl_add_u64 v[34:35], v[12:13], 0, -1
	v_cmp_ne_u32_e32 vcc, 0, v12
	v_lshlrev_b32_e32 v29, 28, v7
	s_waitcnt vmcnt(5)
	v_mad_u64_u32 v[22:23], s[0:1], v5, v3, v[6:7]
	v_not_b32_e32 v3, v25
	v_cmp_gt_i64_e64 s[0:1], 0, v[24:25]
	v_not_b32_e32 v5, v27
	v_xor_b32_e32 v23, vcc_lo, v34
	v_ashrrev_i32_e32 v3, 31, v3
	v_mul_lo_u32 v36, v7, s12
	v_lshlrev_b32_e32 v31, 27, v7
	v_lshlrev_b32_e32 v33, 26, v7
	v_cmp_gt_i64_e64 s[4:5], 0, v[26:27]
	v_not_b32_e32 v7, v29
	v_ashrrev_i32_e32 v24, 31, v5
	v_and_b32_e32 v23, exec_lo, v23
	v_xor_b32_e32 v25, s1, v3
	v_xor_b32_e32 v3, s0, v3
	v_cmp_gt_i64_e64 s[6:7], 0, v[28:29]
	v_cmp_gt_i64_e64 s[8:9], 0, v[30:31]
	v_not_b32_e32 v12, v31
	v_lshrrev_b32_e32 v30, 6, v22
	v_xor_b32_e32 v22, vcc_hi, v35
	v_ashrrev_i32_e32 v7, 31, v7
	v_xor_b32_e32 v26, s5, v24
	v_xor_b32_e32 v24, s4, v24
	v_and_b32_e32 v3, v23, v3
	v_ashrrev_i32_e32 v12, 31, v12
	v_and_b32_e32 v22, exec_hi, v22
	v_xor_b32_e32 v27, s7, v7
	v_xor_b32_e32 v7, s6, v7
	v_and_b32_e32 v3, v3, v24
	v_xor_b32_e32 v28, s9, v12
	v_xor_b32_e32 v12, s8, v12
	v_and_b32_e32 v22, v22, v25
	v_and_b32_e32 v3, v3, v7
	;; [unrolled: 1-line block ×4, first 2 shown]
	v_not_b32_e32 v12, v33
	v_and_b32_e32 v22, v22, v27
	v_cmp_gt_i64_e32 vcc, 0, v[32:33]
	v_ashrrev_i32_e32 v12, 31, v12
	v_and_b32_e32 v7, v22, v28
	v_xor_b32_e32 v22, vcc_hi, v12
	v_xor_b32_e32 v12, vcc_lo, v12
	v_and_b32_e32 v23, v7, v22
	v_and_b32_e32 v22, v3, v12
	v_mbcnt_lo_u32_b32 v3, v22, 0
	v_mbcnt_hi_u32_b32 v3, v23, v3
	v_cmp_eq_u32_e32 vcc, 0, v3
	v_cmp_ne_u64_e64 s[0:1], 0, v[22:23]
	v_lshl_add_u32 v5, v30, 2, v36
	s_and_b64 s[4:5], s[0:1], vcc
	s_and_saveexec_b64 s[0:1], s[4:5]
; %bb.98:
	v_bcnt_u32_b32 v7, v22, 0
	v_bcnt_u32_b32 v7, v23, v7
	ds_write_b32 v5, v7 offset:64
; %bb.99:
	s_or_b64 exec, exec, s[0:1]
	s_waitcnt vmcnt(4)
	v_not_b32_e32 v11, v11
	v_not_b32_e32 v10, v10
	v_lshrrev_b64 v[22:23], s44, v[10:11]
	v_and_b32_e32 v25, s14, v22
	v_and_b32_e32 v12, 1, v25
	v_lshl_add_u64 v[22:23], v[12:13], 0, -1
	v_cmp_ne_u32_e32 vcc, 0, v12
	v_mul_lo_u32 v7, v25, s12
	v_lshl_add_u32 v24, v30, 2, v7
	v_xor_b32_e32 v22, vcc_lo, v22
	v_xor_b32_e32 v12, vcc_hi, v23
	v_and_b32_e32 v26, exec_lo, v22
	v_lshlrev_b32_e32 v23, 30, v25
	v_mov_b32_e32 v22, v13
	v_cmp_gt_i64_e32 vcc, 0, v[22:23]
	v_not_b32_e32 v22, v23
	v_ashrrev_i32_e32 v22, 31, v22
	v_and_b32_e32 v12, exec_hi, v12
	v_xor_b32_e32 v23, vcc_hi, v22
	v_xor_b32_e32 v22, vcc_lo, v22
	v_and_b32_e32 v12, v12, v23
	v_and_b32_e32 v26, v26, v22
	v_lshlrev_b32_e32 v23, 29, v25
	v_mov_b32_e32 v22, v13
	v_cmp_gt_i64_e32 vcc, 0, v[22:23]
	v_not_b32_e32 v22, v23
	v_ashrrev_i32_e32 v22, 31, v22
	v_xor_b32_e32 v23, vcc_hi, v22
	v_xor_b32_e32 v22, vcc_lo, v22
	v_and_b32_e32 v12, v12, v23
	v_and_b32_e32 v26, v26, v22
	v_lshlrev_b32_e32 v23, 28, v25
	v_mov_b32_e32 v22, v13
	v_cmp_gt_i64_e32 vcc, 0, v[22:23]
	v_not_b32_e32 v22, v23
	v_ashrrev_i32_e32 v22, 31, v22
	;; [unrolled: 9-line block ×3, first 2 shown]
	v_xor_b32_e32 v23, vcc_hi, v22
	v_xor_b32_e32 v22, vcc_lo, v22
	v_and_b32_e32 v12, v12, v23
	v_lshlrev_b32_e32 v23, 26, v25
	v_and_b32_e32 v26, v26, v22
	v_mov_b32_e32 v22, v13
	v_not_b32_e32 v13, v23
	v_cmp_gt_i64_e32 vcc, 0, v[22:23]
	v_ashrrev_i32_e32 v13, 31, v13
	s_nop 0
	v_xor_b32_e32 v22, vcc_hi, v13
	v_xor_b32_e32 v23, vcc_lo, v13
	; wave barrier
	ds_read_b32 v7, v24 offset:64
	v_and_b32_e32 v13, v12, v22
	v_and_b32_e32 v12, v26, v23
	v_mbcnt_lo_u32_b32 v22, v12, 0
	v_mbcnt_hi_u32_b32 v25, v13, v22
	v_cmp_eq_u32_e32 vcc, 0, v25
	v_cmp_ne_u64_e64 s[0:1], 0, v[12:13]
	s_and_b64 s[4:5], s[0:1], vcc
	; wave barrier
	s_and_saveexec_b64 s[0:1], s[4:5]
	s_cbranch_execz .LBB15_101
; %bb.100:
	v_bcnt_u32_b32 v12, v12, 0
	v_bcnt_u32_b32 v12, v13, v12
	s_waitcnt lgkmcnt(0)
	v_add_u32_e32 v12, v7, v12
	ds_write_b32 v24, v12 offset:64
.LBB15_101:
	s_or_b64 exec, exec, s[0:1]
	s_waitcnt vmcnt(3)
	v_not_b32_e32 v13, v21
	v_not_b32_e32 v12, v20
	v_lshrrev_b64 v[20:21], s44, v[12:13]
	v_and_b32_e32 v28, s14, v20
	s_movk_i32 s4, 0x44
	v_mul_lo_u32 v20, v28, s4
	v_lshl_add_u32 v27, v30, 2, v20
	v_and_b32_e32 v20, 1, v28
	v_mov_b32_e32 v21, 0
	v_lshl_add_u64 v[22:23], v[20:21], 0, -1
	v_cmp_ne_u32_e32 vcc, 0, v20
	; wave barrier
	s_nop 1
	v_xor_b32_e32 v22, vcc_lo, v22
	v_xor_b32_e32 v20, vcc_hi, v23
	v_and_b32_e32 v29, exec_lo, v22
	v_lshlrev_b32_e32 v23, 30, v28
	v_mov_b32_e32 v22, v21
	v_cmp_gt_i64_e32 vcc, 0, v[22:23]
	v_not_b32_e32 v22, v23
	v_ashrrev_i32_e32 v22, 31, v22
	v_and_b32_e32 v20, exec_hi, v20
	v_xor_b32_e32 v23, vcc_hi, v22
	v_xor_b32_e32 v22, vcc_lo, v22
	v_and_b32_e32 v20, v20, v23
	v_and_b32_e32 v29, v29, v22
	v_lshlrev_b32_e32 v23, 29, v28
	v_mov_b32_e32 v22, v21
	v_cmp_gt_i64_e32 vcc, 0, v[22:23]
	v_not_b32_e32 v22, v23
	v_ashrrev_i32_e32 v22, 31, v22
	v_xor_b32_e32 v23, vcc_hi, v22
	v_xor_b32_e32 v22, vcc_lo, v22
	v_and_b32_e32 v20, v20, v23
	v_and_b32_e32 v29, v29, v22
	v_lshlrev_b32_e32 v23, 28, v28
	v_mov_b32_e32 v22, v21
	v_cmp_gt_i64_e32 vcc, 0, v[22:23]
	v_not_b32_e32 v22, v23
	v_ashrrev_i32_e32 v22, 31, v22
	;; [unrolled: 9-line block ×4, first 2 shown]
	v_xor_b32_e32 v23, vcc_hi, v22
	v_xor_b32_e32 v22, vcc_lo, v22
	ds_read_b32 v26, v27 offset:64
	v_and_b32_e32 v22, v29, v22
	v_and_b32_e32 v23, v20, v23
	v_mbcnt_lo_u32_b32 v20, v22, 0
	v_mbcnt_hi_u32_b32 v28, v23, v20
	v_cmp_eq_u32_e32 vcc, 0, v28
	v_cmp_ne_u64_e64 s[0:1], 0, v[22:23]
	s_and_b64 s[6:7], s[0:1], vcc
	; wave barrier
	s_and_saveexec_b64 s[0:1], s[6:7]
	s_cbranch_execz .LBB15_103
; %bb.102:
	v_bcnt_u32_b32 v20, v22, 0
	v_bcnt_u32_b32 v20, v23, v20
	s_waitcnt lgkmcnt(0)
	v_add_u32_e32 v20, v26, v20
	ds_write_b32 v27, v20 offset:64
.LBB15_103:
	s_or_b64 exec, exec, s[0:1]
	s_waitcnt vmcnt(2)
	v_not_b32_e32 v17, v17
	v_not_b32_e32 v16, v16
	v_lshrrev_b64 v[22:23], s44, v[16:17]
	v_and_b32_e32 v32, s14, v22
	v_mul_lo_u32 v20, v32, s4
	v_lshl_add_u32 v31, v30, 2, v20
	v_and_b32_e32 v20, 1, v32
	v_lshl_add_u64 v[22:23], v[20:21], 0, -1
	v_cmp_ne_u32_e32 vcc, 0, v20
	; wave barrier
	s_nop 1
	v_xor_b32_e32 v22, vcc_lo, v22
	v_xor_b32_e32 v20, vcc_hi, v23
	v_and_b32_e32 v33, exec_lo, v22
	v_lshlrev_b32_e32 v23, 30, v32
	v_mov_b32_e32 v22, v21
	v_cmp_gt_i64_e32 vcc, 0, v[22:23]
	v_not_b32_e32 v22, v23
	v_ashrrev_i32_e32 v22, 31, v22
	v_and_b32_e32 v20, exec_hi, v20
	v_xor_b32_e32 v23, vcc_hi, v22
	v_xor_b32_e32 v22, vcc_lo, v22
	v_and_b32_e32 v20, v20, v23
	v_and_b32_e32 v33, v33, v22
	v_lshlrev_b32_e32 v23, 29, v32
	v_mov_b32_e32 v22, v21
	v_cmp_gt_i64_e32 vcc, 0, v[22:23]
	v_not_b32_e32 v22, v23
	v_ashrrev_i32_e32 v22, 31, v22
	v_xor_b32_e32 v23, vcc_hi, v22
	v_xor_b32_e32 v22, vcc_lo, v22
	v_and_b32_e32 v20, v20, v23
	v_and_b32_e32 v33, v33, v22
	v_lshlrev_b32_e32 v23, 28, v32
	v_mov_b32_e32 v22, v21
	v_cmp_gt_i64_e32 vcc, 0, v[22:23]
	v_not_b32_e32 v22, v23
	v_ashrrev_i32_e32 v22, 31, v22
	;; [unrolled: 9-line block ×3, first 2 shown]
	v_xor_b32_e32 v23, vcc_hi, v22
	v_xor_b32_e32 v22, vcc_lo, v22
	v_and_b32_e32 v20, v20, v23
	v_lshlrev_b32_e32 v23, 26, v32
	v_and_b32_e32 v33, v33, v22
	v_mov_b32_e32 v22, v21
	v_not_b32_e32 v21, v23
	v_cmp_gt_i64_e32 vcc, 0, v[22:23]
	v_ashrrev_i32_e32 v21, 31, v21
	ds_read_b32 v29, v31 offset:64
	v_xor_b32_e32 v22, vcc_hi, v21
	v_xor_b32_e32 v23, vcc_lo, v21
	v_and_b32_e32 v21, v20, v22
	v_and_b32_e32 v20, v33, v23
	v_mbcnt_lo_u32_b32 v22, v20, 0
	v_mbcnt_hi_u32_b32 v32, v21, v22
	v_cmp_eq_u32_e32 vcc, 0, v32
	v_cmp_ne_u64_e64 s[0:1], 0, v[20:21]
	s_and_b64 s[4:5], s[0:1], vcc
	; wave barrier
	s_and_saveexec_b64 s[0:1], s[4:5]
	s_cbranch_execz .LBB15_105
; %bb.104:
	v_bcnt_u32_b32 v20, v20, 0
	v_bcnt_u32_b32 v20, v21, v20
	s_waitcnt lgkmcnt(0)
	v_add_u32_e32 v20, v29, v20
	ds_write_b32 v31, v20 offset:64
.LBB15_105:
	s_or_b64 exec, exec, s[0:1]
	s_waitcnt vmcnt(1)
	v_not_b32_e32 v21, v19
	v_not_b32_e32 v20, v18
	v_lshrrev_b64 v[18:19], s44, v[20:21]
	v_and_b32_e32 v35, s14, v18
	s_movk_i32 s4, 0x44
	v_mul_lo_u32 v18, v35, s4
	v_lshl_add_u32 v34, v30, 2, v18
	v_and_b32_e32 v18, 1, v35
	v_mov_b32_e32 v19, 0
	v_lshl_add_u64 v[22:23], v[18:19], 0, -1
	v_cmp_ne_u32_e32 vcc, 0, v18
	; wave barrier
	s_nop 1
	v_xor_b32_e32 v22, vcc_lo, v22
	v_xor_b32_e32 v18, vcc_hi, v23
	v_and_b32_e32 v36, exec_lo, v22
	v_lshlrev_b32_e32 v23, 30, v35
	v_mov_b32_e32 v22, v19
	v_cmp_gt_i64_e32 vcc, 0, v[22:23]
	v_not_b32_e32 v22, v23
	v_ashrrev_i32_e32 v22, 31, v22
	v_and_b32_e32 v18, exec_hi, v18
	v_xor_b32_e32 v23, vcc_hi, v22
	v_xor_b32_e32 v22, vcc_lo, v22
	v_and_b32_e32 v18, v18, v23
	v_and_b32_e32 v36, v36, v22
	v_lshlrev_b32_e32 v23, 29, v35
	v_mov_b32_e32 v22, v19
	v_cmp_gt_i64_e32 vcc, 0, v[22:23]
	v_not_b32_e32 v22, v23
	v_ashrrev_i32_e32 v22, 31, v22
	v_xor_b32_e32 v23, vcc_hi, v22
	v_xor_b32_e32 v22, vcc_lo, v22
	v_and_b32_e32 v18, v18, v23
	v_and_b32_e32 v36, v36, v22
	v_lshlrev_b32_e32 v23, 28, v35
	v_mov_b32_e32 v22, v19
	v_cmp_gt_i64_e32 vcc, 0, v[22:23]
	v_not_b32_e32 v22, v23
	v_ashrrev_i32_e32 v22, 31, v22
	;; [unrolled: 9-line block ×4, first 2 shown]
	v_xor_b32_e32 v23, vcc_hi, v22
	v_xor_b32_e32 v22, vcc_lo, v22
	ds_read_b32 v33, v34 offset:64
	v_and_b32_e32 v22, v36, v22
	v_and_b32_e32 v23, v18, v23
	v_mbcnt_lo_u32_b32 v18, v22, 0
	v_mbcnt_hi_u32_b32 v35, v23, v18
	v_cmp_eq_u32_e32 vcc, 0, v35
	v_cmp_ne_u64_e64 s[0:1], 0, v[22:23]
	s_and_b64 s[6:7], s[0:1], vcc
	; wave barrier
	s_and_saveexec_b64 s[0:1], s[6:7]
	s_cbranch_execz .LBB15_107
; %bb.106:
	v_bcnt_u32_b32 v18, v22, 0
	v_bcnt_u32_b32 v18, v23, v18
	s_waitcnt lgkmcnt(0)
	v_add_u32_e32 v18, v33, v18
	ds_write_b32 v34, v18 offset:64
.LBB15_107:
	s_or_b64 exec, exec, s[0:1]
	s_waitcnt vmcnt(0)
	v_not_b32_e32 v23, v15
	v_not_b32_e32 v22, v14
	v_lshrrev_b64 v[14:15], s44, v[22:23]
	v_and_b32_e32 v36, s14, v14
	v_mul_lo_u32 v14, v36, s4
	v_and_b32_e32 v18, 1, v36
	v_lshl_add_u32 v37, v30, 2, v14
	v_lshl_add_u64 v[14:15], v[18:19], 0, -1
	v_cmp_ne_u32_e32 vcc, 0, v18
	; wave barrier
	s_nop 1
	v_xor_b32_e32 v15, vcc_hi, v15
	v_xor_b32_e32 v14, vcc_lo, v14
	v_and_b32_e32 v18, exec_hi, v15
	v_and_b32_e32 v38, exec_lo, v14
	v_lshlrev_b32_e32 v15, 30, v36
	v_mov_b32_e32 v14, v19
	v_cmp_gt_i64_e32 vcc, 0, v[14:15]
	v_not_b32_e32 v14, v15
	v_ashrrev_i32_e32 v14, 31, v14
	v_xor_b32_e32 v15, vcc_hi, v14
	v_xor_b32_e32 v14, vcc_lo, v14
	v_and_b32_e32 v18, v18, v15
	v_and_b32_e32 v38, v38, v14
	v_lshlrev_b32_e32 v15, 29, v36
	v_mov_b32_e32 v14, v19
	v_cmp_gt_i64_e32 vcc, 0, v[14:15]
	v_not_b32_e32 v14, v15
	v_ashrrev_i32_e32 v14, 31, v14
	v_xor_b32_e32 v15, vcc_hi, v14
	v_xor_b32_e32 v14, vcc_lo, v14
	v_and_b32_e32 v18, v18, v15
	v_and_b32_e32 v38, v38, v14
	;; [unrolled: 9-line block ×4, first 2 shown]
	v_lshlrev_b32_e32 v15, 26, v36
	v_mov_b32_e32 v14, v19
	v_cmp_gt_i64_e32 vcc, 0, v[14:15]
	v_not_b32_e32 v14, v15
	v_ashrrev_i32_e32 v14, 31, v14
	v_xor_b32_e32 v15, vcc_hi, v14
	v_xor_b32_e32 v14, vcc_lo, v14
	ds_read_b32 v30, v37 offset:64
	v_and_b32_e32 v14, v38, v14
	v_and_b32_e32 v15, v18, v15
	v_mbcnt_lo_u32_b32 v18, v14, 0
	v_mbcnt_hi_u32_b32 v36, v15, v18
	v_cmp_eq_u32_e32 vcc, 0, v36
	v_cmp_ne_u64_e64 s[0:1], 0, v[14:15]
	s_and_b64 s[4:5], s[0:1], vcc
	; wave barrier
	s_and_saveexec_b64 s[0:1], s[4:5]
	s_cbranch_execz .LBB15_109
; %bb.108:
	v_bcnt_u32_b32 v14, v14, 0
	v_bcnt_u32_b32 v14, v15, v14
	s_waitcnt lgkmcnt(0)
	v_add_u32_e32 v14, v30, v14
	ds_write_b32 v37, v14 offset:64
.LBB15_109:
	s_or_b64 exec, exec, s[0:1]
	; wave barrier
	s_waitcnt lgkmcnt(0)
	s_barrier
	ds_read_b64 v[14:15], v0 offset:64
	v_and_b32_e32 v18, 15, v1
	v_cmp_eq_u32_e32 vcc, 0, v18
	v_cmp_lt_u32_e64 s[0:1], 1, v18
	v_cmp_lt_u32_e64 s[6:7], 3, v18
	s_waitcnt lgkmcnt(0)
	v_add_u32_e32 v15, v15, v14
	v_cmp_lt_u32_e64 s[4:5], 7, v18
	v_cmp_lt_u32_e64 s[8:9], 31, v1
	v_mov_b32_dpp v19, v15 row_shr:1 row_mask:0xf bank_mask:0xf
	v_cndmask_b32_e64 v19, v19, 0, vcc
	v_add_u32_e32 v15, v19, v15
	s_nop 1
	v_mov_b32_dpp v19, v15 row_shr:2 row_mask:0xf bank_mask:0xf
	v_cndmask_b32_e64 v19, 0, v19, s[0:1]
	v_add_u32_e32 v15, v15, v19
	s_nop 1
	v_mov_b32_dpp v19, v15 row_shr:4 row_mask:0xf bank_mask:0xf
	v_cndmask_b32_e64 v19, 0, v19, s[6:7]
	;; [unrolled: 4-line block ×3, first 2 shown]
	v_add_u32_e32 v15, v15, v18
	v_bfe_i32 v19, v1, 4, 1
	s_nop 0
	v_mov_b32_dpp v18, v15 row_bcast:15 row_mask:0xf bank_mask:0xf
	v_and_b32_e32 v18, v19, v18
	v_add_u32_e32 v15, v15, v18
	v_and_b32_e32 v19, 63, v6
	s_nop 0
	v_mov_b32_dpp v18, v15 row_bcast:31 row_mask:0xf bank_mask:0xf
	v_cndmask_b32_e64 v18, 0, v18, s[8:9]
	v_add_u32_e32 v15, v15, v18
	v_lshrrev_b32_e32 v18, 6, v6
	v_cmp_eq_u32_e64 s[8:9], 63, v19
	s_and_saveexec_b64 s[12:13], s[8:9]
; %bb.110:
	v_lshlrev_b32_e32 v19, 2, v18
	ds_write_b32 v19, v15
; %bb.111:
	s_or_b64 exec, exec, s[12:13]
	v_cmp_gt_u32_e64 s[8:9], 16, v6
	s_waitcnt lgkmcnt(0)
	s_barrier
	s_and_saveexec_b64 s[12:13], s[8:9]
	s_cbranch_execz .LBB15_113
; %bb.112:
	v_lshlrev_b32_e32 v19, 2, v6
	ds_read_b32 v38, v19
	s_waitcnt lgkmcnt(0)
	s_nop 0
	v_mov_b32_dpp v39, v38 row_shr:1 row_mask:0xf bank_mask:0xf
	v_cndmask_b32_e64 v39, v39, 0, vcc
	v_add_u32_e32 v38, v39, v38
	s_nop 1
	v_mov_b32_dpp v39, v38 row_shr:2 row_mask:0xf bank_mask:0xf
	v_cndmask_b32_e64 v39, 0, v39, s[0:1]
	v_add_u32_e32 v38, v38, v39
	s_nop 1
	v_mov_b32_dpp v39, v38 row_shr:4 row_mask:0xf bank_mask:0xf
	v_cndmask_b32_e64 v39, 0, v39, s[6:7]
	;; [unrolled: 4-line block ×3, first 2 shown]
	v_add_u32_e32 v38, v38, v39
	ds_write_b32 v19, v38
.LBB15_113:
	s_or_b64 exec, exec, s[12:13]
	v_cmp_gt_u32_e64 s[0:1], 64, v6
	v_cmp_lt_u32_e32 vcc, 63, v6
	v_mov_b32_e32 v19, 0
	s_waitcnt lgkmcnt(0)
	s_barrier
	s_and_saveexec_b64 s[4:5], vcc
; %bb.114:
	v_lshl_add_u32 v18, v18, 2, -4
	ds_read_b32 v19, v18
; %bb.115:
	s_or_b64 exec, exec, s[4:5]
	v_add_u32_e32 v18, -1, v1
	v_and_b32_e32 v38, 64, v1
	v_cmp_lt_i32_e64 s[4:5], v18, v38
	s_waitcnt lgkmcnt(0)
	v_add_u32_e32 v15, v19, v15
	v_cndmask_b32_e64 v18, v18, v1, s[4:5]
	v_lshlrev_b32_e32 v18, 2, v18
	ds_bpermute_b32 v15, v18, v15
	v_cmp_eq_u32_e64 s[4:5], 0, v1
	s_waitcnt lgkmcnt(0)
	s_nop 0
	v_cndmask_b32_e64 v1, v15, v19, s[4:5]
	v_cmp_ne_u32_e64 s[4:5], 0, v6
	s_nop 1
	v_cndmask_b32_e64 v18, 0, v1, s[4:5]
	v_add_u32_e32 v19, v18, v14
	ds_write_b64 v0, v[18:19] offset:64
	s_waitcnt lgkmcnt(0)
	s_barrier
	ds_read_b32 v19, v5 offset:64
	ds_read_b32 v38, v24 offset:64
	;; [unrolled: 1-line block ×6, first 2 shown]
	v_mov_b64_e32 v[14:15], 0
                                        ; implicit-def: $vgpr18
	s_and_saveexec_b64 s[6:7], s[0:1]
	s_cbranch_execz .LBB15_119
; %bb.116:
	v_mul_u32_u24_e32 v14, 0x44, v6
	ds_read_b32 v14, v14 offset:64
	v_add_u32_e32 v18, 1, v6
	v_cmp_ne_u32_e64 s[4:5], 64, v18
	v_mov_b32_e32 v15, 0x1800
	s_and_saveexec_b64 s[8:9], s[4:5]
; %bb.117:
	v_mul_u32_u24_e32 v15, 0x44, v18
	ds_read_b32 v15, v15 offset:64
; %bb.118:
	s_or_b64 exec, exec, s[8:9]
	s_waitcnt lgkmcnt(0)
	v_sub_u32_e32 v18, v15, v14
	v_mov_b32_e32 v15, 0
.LBB15_119:
	s_or_b64 exec, exec, s[6:7]
	v_lshlrev_b32_e32 v3, 3, v3
	s_waitcnt lgkmcnt(5)
	v_lshl_add_u32 v19, v19, 3, v3
	s_waitcnt lgkmcnt(0)
	s_barrier
	ds_write_b64 v19, v[8:9] offset:512
	v_lshlrev_b32_e32 v3, 3, v25
	v_lshlrev_b32_e32 v7, 3, v7
	v_lshlrev_b32_e32 v8, 3, v38
	v_add3_u32 v7, v3, v7, v8
	v_lshlrev_b32_e32 v3, 3, v28
	v_lshlrev_b32_e32 v8, 3, v26
	v_lshlrev_b32_e32 v9, 3, v24
	v_add3_u32 v24, v3, v8, v9
	;; [unrolled: 4-line block ×3, first 2 shown]
	v_lshlrev_b32_e32 v3, 3, v35
	v_lshlrev_b32_e32 v8, 3, v33
	;; [unrolled: 1-line block ×3, first 2 shown]
	ds_write_b64 v7, v[10:11] offset:512
	ds_write_b64 v24, v[12:13] offset:512
	;; [unrolled: 1-line block ×3, first 2 shown]
	v_add3_u32 v16, v3, v8, v5
	v_lshlrev_b32_e32 v3, 3, v36
	v_lshlrev_b32_e32 v5, 3, v30
	v_lshlrev_b32_e32 v1, 3, v1
	v_add3_u32 v17, v3, v5, v1
	v_mov_b32_e32 v9, 0
	ds_write_b64 v16, v[20:21] offset:512
	ds_write_b64 v17, v[22:23] offset:512
	s_waitcnt lgkmcnt(0)
	s_barrier
	s_and_saveexec_b64 s[4:5], s[0:1]
	s_cbranch_execz .LBB15_129
; %bb.120:
	v_lshl_add_u32 v8, s2, 6, v6
	v_lshl_add_u64 v[10:11], v[8:9], 2, s[34:35]
	v_or_b32_e32 v1, 2.0, v18
	global_store_dword v[10:11], v1, off sc1
	s_mov_b64 s[6:7], 0
	s_brev_b32 s15, -4
	s_mov_b32 s16, s2
	v_mov_b32_e32 v1, 0
                                        ; implicit-def: $sgpr0_sgpr1
	s_branch .LBB15_123
.LBB15_121:                             ;   in Loop: Header=BB15_123 Depth=1
	s_or_b64 exec, exec, s[12:13]
.LBB15_122:                             ;   in Loop: Header=BB15_123 Depth=1
	s_or_b64 exec, exec, s[8:9]
	v_and_b32_e32 v5, 0x3fffffff, v3
	v_add_u32_e32 v1, v5, v1
	v_cmp_gt_i32_e64 s[0:1], -2.0, v3
	s_and_b64 s[8:9], exec, s[0:1]
	s_or_b64 s[6:7], s[8:9], s[6:7]
	s_andn2_b64 exec, exec, s[6:7]
	s_cbranch_execz .LBB15_128
.LBB15_123:                             ; =>This Loop Header: Depth=1
                                        ;     Child Loop BB15_126 Depth 2
	s_or_b64 s[0:1], s[0:1], exec
	s_cmp_eq_u32 s16, 0
	s_cbranch_scc1 .LBB15_127
; %bb.124:                              ;   in Loop: Header=BB15_123 Depth=1
	s_add_i32 s16, s16, -1
	v_lshl_or_b32 v8, s16, 6, v6
	v_lshl_add_u64 v[12:13], v[8:9], 2, s[34:35]
	global_load_dword v3, v[12:13], off sc1
	s_waitcnt vmcnt(0)
	v_cmp_gt_u32_e64 s[0:1], 2.0, v3
	s_and_saveexec_b64 s[8:9], s[0:1]
	s_cbranch_execz .LBB15_122
; %bb.125:                              ;   in Loop: Header=BB15_123 Depth=1
	s_mov_b64 s[12:13], 0
.LBB15_126:                             ;   Parent Loop BB15_123 Depth=1
                                        ; =>  This Inner Loop Header: Depth=2
	global_load_dword v3, v[12:13], off sc1
	s_waitcnt vmcnt(0)
	v_cmp_lt_u32_e64 s[0:1], s15, v3
	s_or_b64 s[12:13], s[0:1], s[12:13]
	s_andn2_b64 exec, exec, s[12:13]
	s_cbranch_execnz .LBB15_126
	s_branch .LBB15_121
.LBB15_127:                             ;   in Loop: Header=BB15_123 Depth=1
                                        ; implicit-def: $sgpr16
	s_and_b64 s[8:9], exec, s[0:1]
	s_or_b64 s[6:7], s[8:9], s[6:7]
	s_andn2_b64 exec, exec, s[6:7]
	s_cbranch_execnz .LBB15_123
.LBB15_128:
	s_or_b64 exec, exec, s[6:7]
	v_add_u32_e32 v3, v1, v18
	v_or_b32_e32 v3, 0x80000000, v3
	global_store_dword v[10:11], v3, off sc1
	global_load_dwordx2 v[8:9], v0, s[28:29]
	v_sub_co_u32_e64 v10, s[0:1], v1, v14
	s_nop 1
	v_subb_co_u32_e64 v11, s[0:1], 0, v15, s[0:1]
	s_waitcnt vmcnt(0)
	v_lshl_add_u64 v[8:9], v[10:11], 0, v[8:9]
	ds_write_b64 v0, v[8:9]
.LBB15_129:
	s_or_b64 exec, exec, s[4:5]
	s_waitcnt lgkmcnt(0)
	s_barrier
	ds_read2st64_b64 v[8:11], v0 offset0:1 offset1:17
	s_add_u32 s0, s40, s10
	s_addc_u32 s1, s41, s11
	s_add_i32 s3, s3, -1
	s_cmp_eq_u32 s2, s3
	s_waitcnt lgkmcnt(0)
	v_lshrrev_b64 v[12:13], s44, v[8:9]
	v_and_b32_e32 v1, s14, v12
	v_lshlrev_b32_e32 v6, 3, v1
	ds_read2st64_b64 v[20:23], v0 offset0:33 offset1:49
	ds_read_b64 v[12:13], v6
	v_lshrrev_b64 v[26:27], s44, v[10:11]
	v_and_b32_e32 v1, s14, v26
	v_lshlrev_b32_e32 v36, 3, v1
	s_waitcnt lgkmcnt(1)
	v_lshrrev_b64 v[26:27], s44, v[20:21]
	v_and_b32_e32 v1, s14, v26
	v_lshrrev_b64 v[26:27], s44, v[22:23]
	v_lshlrev_b32_e32 v37, 3, v1
	v_and_b32_e32 v1, s14, v26
	v_lshlrev_b32_e32 v38, 3, v1
	ds_read_b64 v[26:27], v36
	ds_read_b64 v[28:29], v37
	;; [unrolled: 1-line block ×3, first 2 shown]
	s_waitcnt lgkmcnt(3)
	v_lshl_add_u64 v[12:13], v[12:13], 3, s[38:39]
	v_mov_b32_e32 v1, 0
	v_not_b32_e32 v9, v9
	v_not_b32_e32 v8, v8
	v_lshl_add_u64 v[12:13], v[12:13], 0, v[0:1]
	global_store_dwordx2 v[12:13], v[8:9], off
	v_not_b32_e32 v9, v11
	v_not_b32_e32 v8, v10
	s_waitcnt lgkmcnt(2)
	v_lshl_add_u64 v[10:11], v[26:27], 3, s[38:39]
	v_or_b32_e32 v12, 0x2000, v0
	v_mov_b32_e32 v13, v1
	v_lshl_add_u64 v[10:11], v[10:11], 0, v[12:13]
	global_store_dwordx2 v[10:11], v[8:9], off
	v_not_b32_e32 v9, v21
	v_not_b32_e32 v8, v20
	s_waitcnt lgkmcnt(1)
	v_lshl_add_u64 v[10:11], v[28:29], 3, s[38:39]
	v_or_b32_e32 v20, 0x4000, v0
	v_mov_b32_e32 v21, v1
	v_lshl_add_u64 v[10:11], v[10:11], 0, v[20:21]
	global_store_dwordx2 v[10:11], v[8:9], off
	ds_read2st64_b64 v[8:11], v0 offset0:65 offset1:81
	s_waitcnt lgkmcnt(1)
	v_lshl_add_u64 v[26:27], v[30:31], 3, s[38:39]
	v_or_b32_e32 v28, 0x6000, v0
	v_mov_b32_e32 v29, v1
	v_not_b32_e32 v23, v23
	v_not_b32_e32 v22, v22
	v_lshl_add_u64 v[26:27], v[26:27], 0, v[28:29]
	global_store_dwordx2 v[26:27], v[22:23], off
	s_waitcnt lgkmcnt(0)
	v_lshrrev_b64 v[22:23], s44, v[8:9]
	v_and_b32_e32 v3, s14, v22
	v_lshlrev_b32_e32 v39, 3, v3
	v_lshrrev_b64 v[26:27], s44, v[10:11]
	ds_read_b64 v[22:23], v39
	v_and_b32_e32 v3, s14, v26
	v_lshlrev_b32_e32 v40, 3, v3
	ds_read_b64 v[26:27], v40
	v_or_b32_e32 v30, 0x8000, v0
	s_waitcnt lgkmcnt(1)
	v_lshl_add_u64 v[22:23], v[22:23], 3, s[38:39]
	v_mov_b32_e32 v31, v1
	v_not_b32_e32 v9, v9
	v_not_b32_e32 v8, v8
	v_lshl_add_u64 v[22:23], v[22:23], 0, v[30:31]
	global_store_dwordx2 v[22:23], v[8:9], off
	v_not_b32_e32 v9, v11
	v_not_b32_e32 v8, v10
	s_waitcnt lgkmcnt(0)
	v_lshl_add_u64 v[10:11], v[26:27], 3, s[38:39]
	v_or_b32_e32 v22, 0xa000, v0
	v_mov_b32_e32 v23, v1
	v_mov_b32_e32 v3, v1
	v_lshl_add_u64 v[10:11], v[10:11], 0, v[22:23]
	v_lshl_add_u64 v[2:3], s[0:1], 0, v[2:3]
	v_mov_b32_e32 v5, v1
	global_store_dwordx2 v[10:11], v[8:9], off
	v_lshl_add_u64 v[2:3], v[2:3], 0, v[4:5]
	global_load_dwordx2 v[4:5], v[2:3], off
	global_load_dwordx2 v[8:9], v[2:3], off offset:512
	global_load_dwordx2 v[10:11], v[2:3], off offset:1024
	;; [unrolled: 1-line block ×5, first 2 shown]
	s_barrier
	s_cselect_b64 s[0:1], -1, 0
	s_xor_b64 s[2:3], vcc, -1
	s_and_b64 s[0:1], s[2:3], s[0:1]
	s_waitcnt vmcnt(5)
	ds_write_b64 v19, v[4:5] offset:512
	s_waitcnt vmcnt(4)
	ds_write_b64 v7, v[8:9] offset:512
	;; [unrolled: 2-line block ×6, first 2 shown]
	s_waitcnt lgkmcnt(0)
	s_barrier
	ds_read_b64 v[6:7], v6
	ds_read_b64 v[8:9], v36
	ds_read2st64_b64 v[2:5], v0 offset0:1 offset1:17
	ds_read_b64 v[10:11], v37
	ds_read_b64 v[16:17], v38
	s_waitcnt lgkmcnt(4)
	v_lshl_add_u64 v[6:7], v[6:7], 3, s[42:43]
	v_lshl_add_u64 v[6:7], v[6:7], 0, v[0:1]
	s_waitcnt lgkmcnt(3)
	v_lshl_add_u64 v[24:25], v[8:9], 3, s[42:43]
	s_waitcnt lgkmcnt(2)
	global_store_dwordx2 v[6:7], v[2:3], off
	ds_read2st64_b64 v[6:9], v0 offset0:33 offset1:49
	v_lshl_add_u64 v[2:3], v[24:25], 0, v[12:13]
	global_store_dwordx2 v[2:3], v[4:5], off
	s_waitcnt lgkmcnt(2)
	v_lshl_add_u64 v[2:3], v[10:11], 3, s[42:43]
	v_lshl_add_u64 v[2:3], v[2:3], 0, v[20:21]
	s_waitcnt lgkmcnt(0)
	global_store_dwordx2 v[2:3], v[6:7], off
	ds_read_b64 v[6:7], v39
	v_lshl_add_u64 v[2:3], v[16:17], 3, s[42:43]
	v_lshl_add_u64 v[10:11], v[2:3], 0, v[28:29]
	ds_read2st64_b64 v[2:5], v0 offset0:65 offset1:81
	ds_read_b64 v[12:13], v40
	global_store_dwordx2 v[10:11], v[8:9], off
	s_waitcnt lgkmcnt(2)
	v_lshl_add_u64 v[6:7], v[6:7], 3, s[42:43]
	v_lshl_add_u64 v[6:7], v[6:7], 0, v[30:31]
	s_waitcnt lgkmcnt(1)
	global_store_dwordx2 v[6:7], v[2:3], off
	s_waitcnt lgkmcnt(0)
	v_lshl_add_u64 v[2:3], v[12:13], 3, s[42:43]
	v_lshl_add_u64 v[2:3], v[2:3], 0, v[22:23]
	global_store_dwordx2 v[2:3], v[4:5], off
	s_and_saveexec_b64 s[2:3], s[0:1]
	s_cbranch_execz .LBB15_131
; %bb.130:
	ds_read_b64 v[2:3], v0
	v_mov_b32_e32 v19, v1
	v_lshl_add_u64 v[4:5], v[14:15], 0, v[18:19]
	s_waitcnt lgkmcnt(0)
	v_lshl_add_u64 v[2:3], v[4:5], 0, v[2:3]
	global_store_dwordx2 v0, v[2:3], s[30:31]
.LBB15_131:
	s_endpgm
	.section	.rodata,"a",@progbits
	.p2align	6, 0x0
	.amdhsa_kernel _ZN7rocprim17ROCPRIM_304000_NS6detail25onesweep_iteration_kernelINS1_34wrapped_radix_sort_onesweep_configINS0_14default_configEmN2at4cuda3cub6detail10OpaqueTypeILi8EEEEELb1EPmSC_PSA_SD_mNS0_19identity_decomposerEEEvT1_T2_T3_T4_jPT5_SK_PNS1_23onesweep_lookback_stateET6_jjj
		.amdhsa_group_segment_fixed_size 49664
		.amdhsa_private_segment_fixed_size 0
		.amdhsa_kernarg_size 336
		.amdhsa_user_sgpr_count 2
		.amdhsa_user_sgpr_dispatch_ptr 0
		.amdhsa_user_sgpr_queue_ptr 0
		.amdhsa_user_sgpr_kernarg_segment_ptr 1
		.amdhsa_user_sgpr_dispatch_id 0
		.amdhsa_user_sgpr_kernarg_preload_length 0
		.amdhsa_user_sgpr_kernarg_preload_offset 0
		.amdhsa_user_sgpr_private_segment_size 0
		.amdhsa_uses_dynamic_stack 0
		.amdhsa_enable_private_segment 0
		.amdhsa_system_sgpr_workgroup_id_x 1
		.amdhsa_system_sgpr_workgroup_id_y 0
		.amdhsa_system_sgpr_workgroup_id_z 0
		.amdhsa_system_sgpr_workgroup_info 0
		.amdhsa_system_vgpr_workitem_id 2
		.amdhsa_next_free_vgpr 42
		.amdhsa_next_free_sgpr 52
		.amdhsa_accum_offset 44
		.amdhsa_reserve_vcc 1
		.amdhsa_float_round_mode_32 0
		.amdhsa_float_round_mode_16_64 0
		.amdhsa_float_denorm_mode_32 3
		.amdhsa_float_denorm_mode_16_64 3
		.amdhsa_dx10_clamp 1
		.amdhsa_ieee_mode 1
		.amdhsa_fp16_overflow 0
		.amdhsa_tg_split 0
		.amdhsa_exception_fp_ieee_invalid_op 0
		.amdhsa_exception_fp_denorm_src 0
		.amdhsa_exception_fp_ieee_div_zero 0
		.amdhsa_exception_fp_ieee_overflow 0
		.amdhsa_exception_fp_ieee_underflow 0
		.amdhsa_exception_fp_ieee_inexact 0
		.amdhsa_exception_int_div_zero 0
	.end_amdhsa_kernel
	.section	.text._ZN7rocprim17ROCPRIM_304000_NS6detail25onesweep_iteration_kernelINS1_34wrapped_radix_sort_onesweep_configINS0_14default_configEmN2at4cuda3cub6detail10OpaqueTypeILi8EEEEELb1EPmSC_PSA_SD_mNS0_19identity_decomposerEEEvT1_T2_T3_T4_jPT5_SK_PNS1_23onesweep_lookback_stateET6_jjj,"axG",@progbits,_ZN7rocprim17ROCPRIM_304000_NS6detail25onesweep_iteration_kernelINS1_34wrapped_radix_sort_onesweep_configINS0_14default_configEmN2at4cuda3cub6detail10OpaqueTypeILi8EEEEELb1EPmSC_PSA_SD_mNS0_19identity_decomposerEEEvT1_T2_T3_T4_jPT5_SK_PNS1_23onesweep_lookback_stateET6_jjj,comdat
.Lfunc_end15:
	.size	_ZN7rocprim17ROCPRIM_304000_NS6detail25onesweep_iteration_kernelINS1_34wrapped_radix_sort_onesweep_configINS0_14default_configEmN2at4cuda3cub6detail10OpaqueTypeILi8EEEEELb1EPmSC_PSA_SD_mNS0_19identity_decomposerEEEvT1_T2_T3_T4_jPT5_SK_PNS1_23onesweep_lookback_stateET6_jjj, .Lfunc_end15-_ZN7rocprim17ROCPRIM_304000_NS6detail25onesweep_iteration_kernelINS1_34wrapped_radix_sort_onesweep_configINS0_14default_configEmN2at4cuda3cub6detail10OpaqueTypeILi8EEEEELb1EPmSC_PSA_SD_mNS0_19identity_decomposerEEEvT1_T2_T3_T4_jPT5_SK_PNS1_23onesweep_lookback_stateET6_jjj
                                        ; -- End function
	.set _ZN7rocprim17ROCPRIM_304000_NS6detail25onesweep_iteration_kernelINS1_34wrapped_radix_sort_onesweep_configINS0_14default_configEmN2at4cuda3cub6detail10OpaqueTypeILi8EEEEELb1EPmSC_PSA_SD_mNS0_19identity_decomposerEEEvT1_T2_T3_T4_jPT5_SK_PNS1_23onesweep_lookback_stateET6_jjj.num_vgpr, 42
	.set _ZN7rocprim17ROCPRIM_304000_NS6detail25onesweep_iteration_kernelINS1_34wrapped_radix_sort_onesweep_configINS0_14default_configEmN2at4cuda3cub6detail10OpaqueTypeILi8EEEEELb1EPmSC_PSA_SD_mNS0_19identity_decomposerEEEvT1_T2_T3_T4_jPT5_SK_PNS1_23onesweep_lookback_stateET6_jjj.num_agpr, 0
	.set _ZN7rocprim17ROCPRIM_304000_NS6detail25onesweep_iteration_kernelINS1_34wrapped_radix_sort_onesweep_configINS0_14default_configEmN2at4cuda3cub6detail10OpaqueTypeILi8EEEEELb1EPmSC_PSA_SD_mNS0_19identity_decomposerEEEvT1_T2_T3_T4_jPT5_SK_PNS1_23onesweep_lookback_stateET6_jjj.numbered_sgpr, 52
	.set _ZN7rocprim17ROCPRIM_304000_NS6detail25onesweep_iteration_kernelINS1_34wrapped_radix_sort_onesweep_configINS0_14default_configEmN2at4cuda3cub6detail10OpaqueTypeILi8EEEEELb1EPmSC_PSA_SD_mNS0_19identity_decomposerEEEvT1_T2_T3_T4_jPT5_SK_PNS1_23onesweep_lookback_stateET6_jjj.num_named_barrier, 0
	.set _ZN7rocprim17ROCPRIM_304000_NS6detail25onesweep_iteration_kernelINS1_34wrapped_radix_sort_onesweep_configINS0_14default_configEmN2at4cuda3cub6detail10OpaqueTypeILi8EEEEELb1EPmSC_PSA_SD_mNS0_19identity_decomposerEEEvT1_T2_T3_T4_jPT5_SK_PNS1_23onesweep_lookback_stateET6_jjj.private_seg_size, 0
	.set _ZN7rocprim17ROCPRIM_304000_NS6detail25onesweep_iteration_kernelINS1_34wrapped_radix_sort_onesweep_configINS0_14default_configEmN2at4cuda3cub6detail10OpaqueTypeILi8EEEEELb1EPmSC_PSA_SD_mNS0_19identity_decomposerEEEvT1_T2_T3_T4_jPT5_SK_PNS1_23onesweep_lookback_stateET6_jjj.uses_vcc, 1
	.set _ZN7rocprim17ROCPRIM_304000_NS6detail25onesweep_iteration_kernelINS1_34wrapped_radix_sort_onesweep_configINS0_14default_configEmN2at4cuda3cub6detail10OpaqueTypeILi8EEEEELb1EPmSC_PSA_SD_mNS0_19identity_decomposerEEEvT1_T2_T3_T4_jPT5_SK_PNS1_23onesweep_lookback_stateET6_jjj.uses_flat_scratch, 0
	.set _ZN7rocprim17ROCPRIM_304000_NS6detail25onesweep_iteration_kernelINS1_34wrapped_radix_sort_onesweep_configINS0_14default_configEmN2at4cuda3cub6detail10OpaqueTypeILi8EEEEELb1EPmSC_PSA_SD_mNS0_19identity_decomposerEEEvT1_T2_T3_T4_jPT5_SK_PNS1_23onesweep_lookback_stateET6_jjj.has_dyn_sized_stack, 0
	.set _ZN7rocprim17ROCPRIM_304000_NS6detail25onesweep_iteration_kernelINS1_34wrapped_radix_sort_onesweep_configINS0_14default_configEmN2at4cuda3cub6detail10OpaqueTypeILi8EEEEELb1EPmSC_PSA_SD_mNS0_19identity_decomposerEEEvT1_T2_T3_T4_jPT5_SK_PNS1_23onesweep_lookback_stateET6_jjj.has_recursion, 0
	.set _ZN7rocprim17ROCPRIM_304000_NS6detail25onesweep_iteration_kernelINS1_34wrapped_radix_sort_onesweep_configINS0_14default_configEmN2at4cuda3cub6detail10OpaqueTypeILi8EEEEELb1EPmSC_PSA_SD_mNS0_19identity_decomposerEEEvT1_T2_T3_T4_jPT5_SK_PNS1_23onesweep_lookback_stateET6_jjj.has_indirect_call, 0
	.section	.AMDGPU.csdata,"",@progbits
; Kernel info:
; codeLenInByte = 10012
; TotalNumSgprs: 58
; NumVgprs: 42
; NumAgprs: 0
; TotalNumVgprs: 42
; ScratchSize: 0
; MemoryBound: 1
; FloatMode: 240
; IeeeMode: 1
; LDSByteSize: 49664 bytes/workgroup (compile time only)
; SGPRBlocks: 7
; VGPRBlocks: 5
; NumSGPRsForWavesPerEU: 58
; NumVGPRsForWavesPerEU: 42
; AccumOffset: 44
; Occupancy: 8
; WaveLimiterHint : 1
; COMPUTE_PGM_RSRC2:SCRATCH_EN: 0
; COMPUTE_PGM_RSRC2:USER_SGPR: 2
; COMPUTE_PGM_RSRC2:TRAP_HANDLER: 0
; COMPUTE_PGM_RSRC2:TGID_X_EN: 1
; COMPUTE_PGM_RSRC2:TGID_Y_EN: 0
; COMPUTE_PGM_RSRC2:TGID_Z_EN: 0
; COMPUTE_PGM_RSRC2:TIDIG_COMP_CNT: 2
; COMPUTE_PGM_RSRC3_GFX90A:ACCUM_OFFSET: 10
; COMPUTE_PGM_RSRC3_GFX90A:TG_SPLIT: 0
	.section	.text._ZN7rocprim17ROCPRIM_304000_NS6detail28radix_sort_block_sort_kernelINS1_36wrapped_radix_sort_block_sort_configINS0_13kernel_configILj256ELj4ELj4294967295EEEmN2at4cuda3cub6detail10OpaqueTypeILi8EEEEELb0EPKmPmPKSB_PSB_NS0_19identity_decomposerEEEvT1_T2_T3_T4_jT5_jj,"axG",@progbits,_ZN7rocprim17ROCPRIM_304000_NS6detail28radix_sort_block_sort_kernelINS1_36wrapped_radix_sort_block_sort_configINS0_13kernel_configILj256ELj4ELj4294967295EEEmN2at4cuda3cub6detail10OpaqueTypeILi8EEEEELb0EPKmPmPKSB_PSB_NS0_19identity_decomposerEEEvT1_T2_T3_T4_jT5_jj,comdat
	.protected	_ZN7rocprim17ROCPRIM_304000_NS6detail28radix_sort_block_sort_kernelINS1_36wrapped_radix_sort_block_sort_configINS0_13kernel_configILj256ELj4ELj4294967295EEEmN2at4cuda3cub6detail10OpaqueTypeILi8EEEEELb0EPKmPmPKSB_PSB_NS0_19identity_decomposerEEEvT1_T2_T3_T4_jT5_jj ; -- Begin function _ZN7rocprim17ROCPRIM_304000_NS6detail28radix_sort_block_sort_kernelINS1_36wrapped_radix_sort_block_sort_configINS0_13kernel_configILj256ELj4ELj4294967295EEEmN2at4cuda3cub6detail10OpaqueTypeILi8EEEEELb0EPKmPmPKSB_PSB_NS0_19identity_decomposerEEEvT1_T2_T3_T4_jT5_jj
	.globl	_ZN7rocprim17ROCPRIM_304000_NS6detail28radix_sort_block_sort_kernelINS1_36wrapped_radix_sort_block_sort_configINS0_13kernel_configILj256ELj4ELj4294967295EEEmN2at4cuda3cub6detail10OpaqueTypeILi8EEEEELb0EPKmPmPKSB_PSB_NS0_19identity_decomposerEEEvT1_T2_T3_T4_jT5_jj
	.p2align	8
	.type	_ZN7rocprim17ROCPRIM_304000_NS6detail28radix_sort_block_sort_kernelINS1_36wrapped_radix_sort_block_sort_configINS0_13kernel_configILj256ELj4ELj4294967295EEEmN2at4cuda3cub6detail10OpaqueTypeILi8EEEEELb0EPKmPmPKSB_PSB_NS0_19identity_decomposerEEEvT1_T2_T3_T4_jT5_jj,@function
_ZN7rocprim17ROCPRIM_304000_NS6detail28radix_sort_block_sort_kernelINS1_36wrapped_radix_sort_block_sort_configINS0_13kernel_configILj256ELj4ELj4294967295EEEmN2at4cuda3cub6detail10OpaqueTypeILi8EEEEELb0EPKmPmPKSB_PSB_NS0_19identity_decomposerEEEvT1_T2_T3_T4_jT5_jj: ; @_ZN7rocprim17ROCPRIM_304000_NS6detail28radix_sort_block_sort_kernelINS1_36wrapped_radix_sort_block_sort_configINS0_13kernel_configILj256ELj4ELj4294967295EEEmN2at4cuda3cub6detail10OpaqueTypeILi8EEEEELb0EPKmPmPKSB_PSB_NS0_19identity_decomposerEEEvT1_T2_T3_T4_jT5_jj
; %bb.0:
	s_load_dword s8, s[0:1], 0x20
	s_load_dwordx8 s[36:43], s[0:1], 0x0
	s_lshl_b32 s4, s2, 10
	s_mov_b32 s5, 0
	v_and_b32_e32 v16, 0x3ff, v0
	s_waitcnt lgkmcnt(0)
	s_lshr_b32 s3, s8, 10
	s_cmp_lg_u32 s2, s3
	s_cselect_b64 s[30:31], -1, 0
	s_lshl_b64 s[28:29], s[4:5], 3
	v_mbcnt_lo_u32_b32 v1, -1, 0
	s_add_u32 s6, s36, s28
	v_mbcnt_hi_u32_b32 v1, -1, v1
	v_lshlrev_b32_e32 v8, 2, v16
	s_addc_u32 s7, s37, s29
	v_and_b32_e32 v9, 0x300, v8
	v_mov_b32_e32 v5, 0
	v_lshlrev_b32_e32 v4, 3, v1
	v_lshl_add_u64 v[6:7], s[6:7], 0, v[4:5]
	v_lshlrev_b32_e32 v2, 3, v9
	v_mov_b32_e32 v3, v5
	s_cmp_eq_u32 s2, s3
	v_lshl_add_u64 v[6:7], v[6:7], 0, v[2:3]
	s_cbranch_scc1 .LBB16_2
; %bb.1:
	s_add_u32 s2, s40, s28
	s_addc_u32 s3, s41, s29
	v_lshl_add_u64 v[10:11], s[2:3], 0, v[4:5]
	global_load_dwordx2 v[36:37], v[6:7], off
	global_load_dwordx2 v[38:39], v[6:7], off offset:512
	global_load_dwordx2 v[40:41], v[6:7], off offset:1024
	;; [unrolled: 1-line block ×3, first 2 shown]
	v_lshl_add_u64 v[10:11], v[10:11], 0, v[2:3]
	global_load_dwordx2 v[44:45], v[10:11], off
	global_load_dwordx2 v[46:47], v[10:11], off offset:512
	global_load_dwordx2 v[48:49], v[10:11], off offset:1024
	s_mov_b64 s[6:7], -1
	s_sub_i32 s33, s8, s4
	s_cbranch_execz .LBB16_3
	s_branch .LBB16_16
.LBB16_2:
	s_mov_b64 s[6:7], 0
                                        ; implicit-def: $vgpr36_vgpr37_vgpr38_vgpr39_vgpr40_vgpr41_vgpr42_vgpr43
                                        ; implicit-def: $vgpr44_vgpr45
                                        ; implicit-def: $vgpr48_vgpr49
	s_sub_i32 s33, s8, s4
.LBB16_3:
	v_add_u32_e32 v3, v1, v9
	s_waitcnt vmcnt(6)
	v_mov_b32_e32 v36, -1
	v_cmp_gt_u32_e32 vcc, s33, v3
	v_mov_b32_e32 v37, v36
	s_waitcnt vmcnt(5)
	v_mov_b32_e32 v38, v36
	v_mov_b32_e32 v39, v36
	s_waitcnt vmcnt(4)
	v_mov_b32_e32 v40, v36
	;; [unrolled: 3-line block ×3, first 2 shown]
	v_mov_b32_e32 v43, v36
	s_and_saveexec_b64 s[2:3], vcc
	s_cbranch_execz .LBB16_5
; %bb.4:
	global_load_dwordx2 v[18:19], v[6:7], off
	v_mov_b32_e32 v24, v36
	v_mov_b32_e32 v25, v36
	;; [unrolled: 1-line block ×6, first 2 shown]
	s_waitcnt vmcnt(0)
	v_mov_b64_e32 v[42:43], v[24:25]
	v_mov_b64_e32 v[40:41], v[22:23]
	;; [unrolled: 1-line block ×4, first 2 shown]
.LBB16_5:
	s_or_b64 exec, exec, s[2:3]
	v_add_u32_e32 v5, 64, v3
	v_cmp_gt_u32_e64 s[2:3], s33, v5
	s_and_saveexec_b64 s[4:5], s[2:3]
	s_cbranch_execz .LBB16_7
; %bb.6:
	global_load_dwordx2 v[38:39], v[6:7], off offset:512
.LBB16_7:
	s_or_b64 exec, exec, s[4:5]
	v_add_u32_e32 v5, 0x80, v3
	v_cmp_gt_u32_e64 s[4:5], s33, v5
	s_and_saveexec_b64 s[6:7], s[4:5]
	s_cbranch_execz .LBB16_9
; %bb.8:
	global_load_dwordx2 v[40:41], v[6:7], off offset:1024
.LBB16_9:
	;; [unrolled: 8-line block ×3, first 2 shown]
	s_or_b64 exec, exec, s[8:9]
	s_add_u32 s8, s40, s28
	s_addc_u32 s9, s41, s29
	v_mov_b32_e32 v5, 0
	v_lshl_add_u64 v[6:7], s[8:9], 0, v[4:5]
	v_mov_b32_e32 v3, v5
	v_lshl_add_u64 v[6:7], v[6:7], 0, v[2:3]
                                        ; implicit-def: $vgpr44_vgpr45
	s_and_saveexec_b64 s[8:9], vcc
	s_cbranch_execnz .LBB16_55
; %bb.12:
	s_or_b64 exec, exec, s[8:9]
	s_and_saveexec_b64 s[8:9], s[2:3]
	s_cbranch_execnz .LBB16_56
.LBB16_13:
	s_or_b64 exec, exec, s[8:9]
                                        ; implicit-def: $vgpr48_vgpr49
	s_and_saveexec_b64 s[2:3], s[4:5]
	s_cbranch_execz .LBB16_15
.LBB16_14:
	global_load_dwordx2 v[48:49], v[6:7], off offset:1024
.LBB16_15:
	s_or_b64 exec, exec, s[2:3]
.LBB16_16:
	s_and_saveexec_b64 s[2:3], s[6:7]
	s_cbranch_execz .LBB16_18
; %bb.17:
	s_add_u32 s4, s40, s28
	s_addc_u32 s5, s41, s29
	v_mov_b32_e32 v5, 0
	v_lshl_add_u64 v[6:7], s[4:5], 0, v[4:5]
	v_mov_b32_e32 v3, v5
	v_lshl_add_u64 v[4:5], v[6:7], 0, v[2:3]
	global_load_dwordx2 v[50:51], v[4:5], off offset:1536
.LBB16_18:
	s_or_b64 exec, exec, s[2:3]
	s_load_dwordx2 s[34:35], s[0:1], 0x28
	s_load_dword s2, s[0:1], 0x3c
	v_bfe_u32 v3, v0, 10, 10
	v_bfe_u32 v0, v0, 20, 10
	s_mov_b32 s26, 0
	s_mov_b32 s27, s26
	s_waitcnt lgkmcnt(0)
	s_lshr_b32 s0, s2, 16
	s_and_b32 s1, s2, 0xffff
	v_mad_u32_u24 v0, v0, s0, v3
	v_mad_u64_u32 v[4:5], s[0:1], v0, s1, v[16:17]
	v_lshrrev_b32_e32 v0, 4, v4
	v_and_b32_e32 v28, 0xffffffc, v0
	v_and_b32_e32 v0, 15, v1
	v_cmp_eq_u32_e64 s[0:1], 0, v0
	v_cmp_lt_u32_e64 s[2:3], 1, v0
	v_cmp_lt_u32_e64 s[4:5], 3, v0
	;; [unrolled: 1-line block ×3, first 2 shown]
	v_and_b32_e32 v0, 16, v1
	v_cmp_eq_u32_e64 s[8:9], 0, v0
	v_and_b32_e32 v0, 0x3c0, v16
	v_min_u32_e32 v0, 0xc0, v0
	v_or_b32_e32 v0, 63, v0
	v_cmp_eq_u32_e64 s[12:13], v16, v0
	v_subrev_co_u32_e64 v0, s[18:19], 1, v1
	v_and_b32_e32 v3, 64, v1
	v_cmp_lt_i32_e32 vcc, v0, v3
	v_lshlrev_b32_e32 v17, 2, v8
	v_and_b32_e32 v3, 3, v1
	v_cndmask_b32_e32 v0, v0, v1, vcc
	v_lshlrev_b32_e32 v29, 2, v0
	v_lshrrev_b32_e32 v0, 4, v16
	v_and_b32_e32 v30, 60, v0
	v_mul_i32_i24_e32 v0, -12, v16
	s_mov_b32 s40, s26
	s_mov_b32 s41, s26
	s_add_i32 s36, s35, s34
	v_cmp_lt_u32_e64 s[10:11], 31, v1
	v_cmp_gt_u32_e64 s[14:15], 4, v16
	v_cmp_lt_u32_e64 s[16:17], 63, v16
	v_cmp_eq_u32_e64 s[20:21], 0, v16
	v_cmp_eq_u32_e64 s[22:23], 0, v3
	v_cmp_lt_u32_e64 s[24:25], 1, v3
	v_add_u32_e32 v31, -4, v30
	v_lshl_add_u32 v32, v1, 3, v2
	v_mov_b64_e32 v[8:9], s[26:27]
	v_mov_b64_e32 v[10:11], s[40:41]
	v_mov_b32_e32 v13, 0
	v_add_u32_e32 v33, v17, v0
	s_branch .LBB16_20
.LBB16_19:                              ;   in Loop: Header=BB16_20 Depth=1
	s_andn2_b64 vcc, exec, s[26:27]
	s_cbranch_vccz .LBB16_36
.LBB16_20:                              ; =>This Inner Loop Header: Depth=1
	s_min_u32 s26, s35, 8
	s_waitcnt vmcnt(6)
	v_mov_b32_e32 v14, v36
	v_mov_b32_e32 v15, v37
	s_lshl_b32 s37, -1, s26
	v_lshrrev_b64 v[0:1], s34, v[14:15]
	v_bitop3_b32 v2, v0, s37, v0 bitop3:0x30
	v_and_b32_e32 v12, 1, v2
	v_lshl_add_u64 v[0:1], v[12:13], 0, -1
	v_cmp_ne_u32_e32 vcc, 0, v12
	v_lshlrev_b32_e32 v3, 4, v2
	s_waitcnt vmcnt(0)
	v_mov_b64_e32 v[20:21], v[44:45]
	v_xor_b32_e32 v1, vcc_hi, v1
	v_xor_b32_e32 v0, vcc_lo, v0
	v_and_b32_e32 v12, exec_hi, v1
	v_and_b32_e32 v22, exec_lo, v0
	v_lshlrev_b32_e32 v1, 30, v2
	v_mov_b32_e32 v0, v13
	v_cmp_gt_i64_e32 vcc, 0, v[0:1]
	v_not_b32_e32 v0, v1
	v_ashrrev_i32_e32 v0, 31, v0
	v_xor_b32_e32 v1, vcc_hi, v0
	v_xor_b32_e32 v0, vcc_lo, v0
	v_and_b32_e32 v12, v12, v1
	v_and_b32_e32 v22, v22, v0
	v_lshlrev_b32_e32 v1, 29, v2
	v_mov_b32_e32 v0, v13
	v_cmp_gt_i64_e32 vcc, 0, v[0:1]
	v_not_b32_e32 v0, v1
	v_ashrrev_i32_e32 v0, 31, v0
	v_xor_b32_e32 v1, vcc_hi, v0
	v_xor_b32_e32 v0, vcc_lo, v0
	v_and_b32_e32 v12, v12, v1
	v_and_b32_e32 v22, v22, v0
	;; [unrolled: 9-line block ×7, first 2 shown]
	v_mbcnt_lo_u32_b32 v2, v0, 0
	v_mbcnt_hi_u32_b32 v34, v1, v2
	v_cmp_eq_u32_e32 vcc, 0, v34
	v_cmp_ne_u64_e64 s[26:27], 0, v[0:1]
	v_mov_b64_e32 v[18:19], v[46:47]
	v_mov_b64_e32 v[6:7], v[48:49]
	;; [unrolled: 1-line block ×3, first 2 shown]
	s_and_b64 s[40:41], s[26:27], vcc
	v_add_u32_e32 v35, v28, v3
	ds_write2_b64 v17, v[8:9], v[10:11] offset0:2 offset1:3
	s_waitcnt lgkmcnt(0)
	s_barrier
	; wave barrier
	s_and_saveexec_b64 s[26:27], s[40:41]
; %bb.21:                               ;   in Loop: Header=BB16_20 Depth=1
	v_bcnt_u32_b32 v0, v0, 0
	v_bcnt_u32_b32 v0, v1, v0
	ds_write_b32 v35, v0 offset:16
; %bb.22:                               ;   in Loop: Header=BB16_20 Depth=1
	s_or_b64 exec, exec, s[26:27]
	v_mov_b32_e32 v22, v38
	v_mov_b32_e32 v23, v39
	s_not_b32 s37, s37
	v_lshrrev_b64 v[0:1], s34, v[22:23]
	v_and_b32_e32 v2, s37, v0
	v_lshlrev_b32_e32 v0, 4, v2
	v_and_b32_e32 v12, 1, v2
	v_add_u32_e32 v37, v28, v0
	v_lshl_add_u64 v[0:1], v[12:13], 0, -1
	v_cmp_ne_u32_e32 vcc, 0, v12
	; wave barrier
	s_nop 1
	v_xor_b32_e32 v1, vcc_hi, v1
	v_xor_b32_e32 v0, vcc_lo, v0
	v_and_b32_e32 v3, exec_hi, v1
	v_and_b32_e32 v12, exec_lo, v0
	v_lshlrev_b32_e32 v1, 30, v2
	v_mov_b32_e32 v0, v13
	v_cmp_gt_i64_e32 vcc, 0, v[0:1]
	v_not_b32_e32 v0, v1
	v_ashrrev_i32_e32 v0, 31, v0
	v_xor_b32_e32 v1, vcc_hi, v0
	v_xor_b32_e32 v0, vcc_lo, v0
	v_and_b32_e32 v3, v3, v1
	v_and_b32_e32 v12, v12, v0
	v_lshlrev_b32_e32 v1, 29, v2
	v_mov_b32_e32 v0, v13
	v_cmp_gt_i64_e32 vcc, 0, v[0:1]
	v_not_b32_e32 v0, v1
	v_ashrrev_i32_e32 v0, 31, v0
	v_xor_b32_e32 v1, vcc_hi, v0
	v_xor_b32_e32 v0, vcc_lo, v0
	v_and_b32_e32 v3, v3, v1
	v_and_b32_e32 v12, v12, v0
	v_lshlrev_b32_e32 v1, 28, v2
	v_mov_b32_e32 v0, v13
	v_cmp_gt_i64_e32 vcc, 0, v[0:1]
	v_not_b32_e32 v0, v1
	v_ashrrev_i32_e32 v0, 31, v0
	v_xor_b32_e32 v1, vcc_hi, v0
	v_xor_b32_e32 v0, vcc_lo, v0
	v_and_b32_e32 v3, v3, v1
	v_and_b32_e32 v12, v12, v0
	v_lshlrev_b32_e32 v1, 27, v2
	v_mov_b32_e32 v0, v13
	v_cmp_gt_i64_e32 vcc, 0, v[0:1]
	v_not_b32_e32 v0, v1
	v_ashrrev_i32_e32 v0, 31, v0
	v_xor_b32_e32 v1, vcc_hi, v0
	v_xor_b32_e32 v0, vcc_lo, v0
	v_and_b32_e32 v3, v3, v1
	v_and_b32_e32 v12, v12, v0
	v_lshlrev_b32_e32 v1, 26, v2
	v_mov_b32_e32 v0, v13
	v_cmp_gt_i64_e32 vcc, 0, v[0:1]
	v_not_b32_e32 v0, v1
	v_ashrrev_i32_e32 v0, 31, v0
	v_xor_b32_e32 v1, vcc_hi, v0
	v_xor_b32_e32 v0, vcc_lo, v0
	v_and_b32_e32 v3, v3, v1
	v_and_b32_e32 v12, v12, v0
	v_lshlrev_b32_e32 v1, 25, v2
	v_mov_b32_e32 v0, v13
	v_cmp_gt_i64_e32 vcc, 0, v[0:1]
	v_not_b32_e32 v0, v1
	v_ashrrev_i32_e32 v0, 31, v0
	v_xor_b32_e32 v1, vcc_hi, v0
	v_xor_b32_e32 v0, vcc_lo, v0
	v_and_b32_e32 v3, v3, v1
	v_and_b32_e32 v12, v12, v0
	v_lshlrev_b32_e32 v1, 24, v2
	v_mov_b32_e32 v0, v13
	v_cmp_gt_i64_e32 vcc, 0, v[0:1]
	v_not_b32_e32 v0, v1
	v_ashrrev_i32_e32 v0, 31, v0
	v_xor_b32_e32 v1, vcc_hi, v0
	v_xor_b32_e32 v0, vcc_lo, v0
	ds_read_b32 v36, v37 offset:16
	v_and_b32_e32 v0, v12, v0
	v_and_b32_e32 v1, v3, v1
	v_mbcnt_lo_u32_b32 v2, v0, 0
	v_mbcnt_hi_u32_b32 v38, v1, v2
	v_cmp_eq_u32_e32 vcc, 0, v38
	v_cmp_ne_u64_e64 s[26:27], 0, v[0:1]
	s_and_b64 s[40:41], s[26:27], vcc
	; wave barrier
	s_and_saveexec_b64 s[26:27], s[40:41]
	s_cbranch_execz .LBB16_24
; %bb.23:                               ;   in Loop: Header=BB16_20 Depth=1
	v_bcnt_u32_b32 v0, v0, 0
	v_bcnt_u32_b32 v0, v1, v0
	s_waitcnt lgkmcnt(0)
	v_add_u32_e32 v0, v36, v0
	ds_write_b32 v37, v0 offset:16
.LBB16_24:                              ;   in Loop: Header=BB16_20 Depth=1
	s_or_b64 exec, exec, s[26:27]
	v_mov_b32_e32 v24, v40
	v_mov_b32_e32 v25, v41
	v_lshrrev_b64 v[0:1], s34, v[24:25]
	v_and_b32_e32 v2, s37, v0
	v_lshlrev_b32_e32 v0, 4, v2
	v_and_b32_e32 v12, 1, v2
	v_add_u32_e32 v40, v28, v0
	v_lshl_add_u64 v[0:1], v[12:13], 0, -1
	v_cmp_ne_u32_e32 vcc, 0, v12
	; wave barrier
	s_nop 1
	v_xor_b32_e32 v1, vcc_hi, v1
	v_xor_b32_e32 v0, vcc_lo, v0
	v_and_b32_e32 v3, exec_hi, v1
	v_and_b32_e32 v12, exec_lo, v0
	v_lshlrev_b32_e32 v1, 30, v2
	v_mov_b32_e32 v0, v13
	v_cmp_gt_i64_e32 vcc, 0, v[0:1]
	v_not_b32_e32 v0, v1
	v_ashrrev_i32_e32 v0, 31, v0
	v_xor_b32_e32 v1, vcc_hi, v0
	v_xor_b32_e32 v0, vcc_lo, v0
	v_and_b32_e32 v3, v3, v1
	v_and_b32_e32 v12, v12, v0
	v_lshlrev_b32_e32 v1, 29, v2
	v_mov_b32_e32 v0, v13
	v_cmp_gt_i64_e32 vcc, 0, v[0:1]
	v_not_b32_e32 v0, v1
	v_ashrrev_i32_e32 v0, 31, v0
	v_xor_b32_e32 v1, vcc_hi, v0
	v_xor_b32_e32 v0, vcc_lo, v0
	v_and_b32_e32 v3, v3, v1
	v_and_b32_e32 v12, v12, v0
	;; [unrolled: 9-line block ×6, first 2 shown]
	v_lshlrev_b32_e32 v1, 24, v2
	v_mov_b32_e32 v0, v13
	v_cmp_gt_i64_e32 vcc, 0, v[0:1]
	v_not_b32_e32 v0, v1
	v_ashrrev_i32_e32 v0, 31, v0
	v_xor_b32_e32 v1, vcc_hi, v0
	v_xor_b32_e32 v0, vcc_lo, v0
	ds_read_b32 v39, v40 offset:16
	v_and_b32_e32 v0, v12, v0
	v_and_b32_e32 v1, v3, v1
	v_mbcnt_lo_u32_b32 v2, v0, 0
	v_mbcnt_hi_u32_b32 v41, v1, v2
	v_cmp_eq_u32_e32 vcc, 0, v41
	v_cmp_ne_u64_e64 s[26:27], 0, v[0:1]
	s_and_b64 s[40:41], s[26:27], vcc
	; wave barrier
	s_and_saveexec_b64 s[26:27], s[40:41]
	s_cbranch_execz .LBB16_26
; %bb.25:                               ;   in Loop: Header=BB16_20 Depth=1
	v_bcnt_u32_b32 v0, v0, 0
	v_bcnt_u32_b32 v0, v1, v0
	s_waitcnt lgkmcnt(0)
	v_add_u32_e32 v0, v39, v0
	ds_write_b32 v40, v0 offset:16
.LBB16_26:                              ;   in Loop: Header=BB16_20 Depth=1
	s_or_b64 exec, exec, s[26:27]
	v_mov_b32_e32 v26, v42
	v_mov_b32_e32 v27, v43
	v_lshrrev_b64 v[0:1], s34, v[26:27]
	v_and_b32_e32 v2, s37, v0
	v_lshlrev_b32_e32 v0, 4, v2
	v_and_b32_e32 v12, 1, v2
	v_add_u32_e32 v43, v28, v0
	v_lshl_add_u64 v[0:1], v[12:13], 0, -1
	v_cmp_ne_u32_e32 vcc, 0, v12
	; wave barrier
	s_nop 1
	v_xor_b32_e32 v1, vcc_hi, v1
	v_xor_b32_e32 v0, vcc_lo, v0
	v_and_b32_e32 v3, exec_hi, v1
	v_and_b32_e32 v12, exec_lo, v0
	v_lshlrev_b32_e32 v1, 30, v2
	v_mov_b32_e32 v0, v13
	v_cmp_gt_i64_e32 vcc, 0, v[0:1]
	v_not_b32_e32 v0, v1
	v_ashrrev_i32_e32 v0, 31, v0
	v_xor_b32_e32 v1, vcc_hi, v0
	v_xor_b32_e32 v0, vcc_lo, v0
	v_and_b32_e32 v3, v3, v1
	v_and_b32_e32 v12, v12, v0
	v_lshlrev_b32_e32 v1, 29, v2
	v_mov_b32_e32 v0, v13
	v_cmp_gt_i64_e32 vcc, 0, v[0:1]
	v_not_b32_e32 v0, v1
	v_ashrrev_i32_e32 v0, 31, v0
	v_xor_b32_e32 v1, vcc_hi, v0
	v_xor_b32_e32 v0, vcc_lo, v0
	v_and_b32_e32 v3, v3, v1
	v_and_b32_e32 v12, v12, v0
	;; [unrolled: 9-line block ×6, first 2 shown]
	v_lshlrev_b32_e32 v1, 24, v2
	v_mov_b32_e32 v0, v13
	v_cmp_gt_i64_e32 vcc, 0, v[0:1]
	v_not_b32_e32 v0, v1
	v_ashrrev_i32_e32 v0, 31, v0
	v_xor_b32_e32 v1, vcc_hi, v0
	v_xor_b32_e32 v0, vcc_lo, v0
	ds_read_b32 v42, v43 offset:16
	v_and_b32_e32 v0, v12, v0
	v_and_b32_e32 v1, v3, v1
	v_mbcnt_lo_u32_b32 v2, v0, 0
	v_mbcnt_hi_u32_b32 v12, v1, v2
	v_cmp_eq_u32_e32 vcc, 0, v12
	v_cmp_ne_u64_e64 s[26:27], 0, v[0:1]
	s_and_b64 s[40:41], s[26:27], vcc
	; wave barrier
	s_and_saveexec_b64 s[26:27], s[40:41]
	s_cbranch_execz .LBB16_28
; %bb.27:                               ;   in Loop: Header=BB16_20 Depth=1
	v_bcnt_u32_b32 v0, v0, 0
	v_bcnt_u32_b32 v0, v1, v0
	s_waitcnt lgkmcnt(0)
	v_add_u32_e32 v0, v42, v0
	ds_write_b32 v43, v0 offset:16
.LBB16_28:                              ;   in Loop: Header=BB16_20 Depth=1
	s_or_b64 exec, exec, s[26:27]
	; wave barrier
	s_waitcnt lgkmcnt(0)
	s_barrier
	ds_read2_b64 v[0:3], v17 offset0:2 offset1:3
	s_waitcnt lgkmcnt(0)
	v_add_u32_e32 v44, v1, v0
	v_add3_u32 v3, v44, v2, v3
	s_nop 1
	v_mov_b32_dpp v44, v3 row_shr:1 row_mask:0xf bank_mask:0xf
	v_cndmask_b32_e64 v44, v44, 0, s[0:1]
	v_add_u32_e32 v3, v44, v3
	s_nop 1
	v_mov_b32_dpp v44, v3 row_shr:2 row_mask:0xf bank_mask:0xf
	v_cndmask_b32_e64 v44, 0, v44, s[2:3]
	v_add_u32_e32 v3, v3, v44
	;; [unrolled: 4-line block ×4, first 2 shown]
	s_nop 1
	v_mov_b32_dpp v44, v3 row_bcast:15 row_mask:0xf bank_mask:0xf
	v_cndmask_b32_e64 v44, v44, 0, s[8:9]
	v_add_u32_e32 v3, v3, v44
	s_nop 1
	v_mov_b32_dpp v44, v3 row_bcast:31 row_mask:0xf bank_mask:0xf
	v_cndmask_b32_e64 v44, 0, v44, s[10:11]
	v_add_u32_e32 v3, v3, v44
	s_and_saveexec_b64 s[26:27], s[12:13]
; %bb.29:                               ;   in Loop: Header=BB16_20 Depth=1
	ds_write_b32 v30, v3
; %bb.30:                               ;   in Loop: Header=BB16_20 Depth=1
	s_or_b64 exec, exec, s[26:27]
	s_waitcnt lgkmcnt(0)
	s_barrier
	s_and_saveexec_b64 s[26:27], s[14:15]
	s_cbranch_execz .LBB16_32
; %bb.31:                               ;   in Loop: Header=BB16_20 Depth=1
	ds_read_b32 v44, v33
	s_waitcnt lgkmcnt(0)
	s_nop 0
	v_mov_b32_dpp v45, v44 row_shr:1 row_mask:0xf bank_mask:0xf
	v_cndmask_b32_e64 v45, v45, 0, s[22:23]
	v_add_u32_e32 v44, v45, v44
	s_nop 1
	v_mov_b32_dpp v45, v44 row_shr:2 row_mask:0xf bank_mask:0xf
	v_cndmask_b32_e64 v45, 0, v45, s[24:25]
	v_add_u32_e32 v44, v44, v45
	ds_write_b32 v33, v44
.LBB16_32:                              ;   in Loop: Header=BB16_20 Depth=1
	s_or_b64 exec, exec, s[26:27]
	v_mov_b32_e32 v44, 0
	s_waitcnt lgkmcnt(0)
	s_barrier
	s_and_saveexec_b64 s[26:27], s[16:17]
; %bb.33:                               ;   in Loop: Header=BB16_20 Depth=1
	ds_read_b32 v44, v31
; %bb.34:                               ;   in Loop: Header=BB16_20 Depth=1
	s_or_b64 exec, exec, s[26:27]
	s_waitcnt lgkmcnt(0)
	v_add_u32_e32 v3, v44, v3
	ds_bpermute_b32 v3, v29, v3
	v_lshlrev_b32_e32 v34, 3, v34
	s_add_i32 s34, s34, 8
	v_lshlrev_b32_e32 v12, 3, v12
	s_cmp_ge_u32 s34, s36
	s_waitcnt lgkmcnt(0)
	v_cndmask_b32_e64 v3, v3, v44, s[18:19]
	v_cndmask_b32_e64 v44, v3, 0, s[20:21]
	v_add_u32_e32 v45, v44, v0
	v_add_u32_e32 v0, v45, v1
	;; [unrolled: 1-line block ×3, first 2 shown]
	ds_write2_b64 v17, v[44:45], v[0:1] offset0:2 offset1:3
	s_waitcnt lgkmcnt(0)
	s_barrier
	ds_read_b32 v0, v35 offset:16
	ds_read_b32 v1, v37 offset:16
	;; [unrolled: 1-line block ×4, first 2 shown]
	v_lshlrev_b32_e32 v35, 3, v36
	s_waitcnt lgkmcnt(3)
	v_lshl_add_u32 v0, v0, 3, v34
	v_lshlrev_b32_e32 v34, 3, v38
	s_waitcnt lgkmcnt(2)
	v_lshlrev_b32_e32 v1, 3, v1
	v_add3_u32 v1, v34, v35, v1
	v_lshlrev_b32_e32 v34, 3, v41
	v_lshlrev_b32_e32 v35, 3, v39
	s_waitcnt lgkmcnt(1)
	v_lshlrev_b32_e32 v2, 3, v2
	v_add3_u32 v2, v34, v35, v2
	v_lshlrev_b32_e32 v34, 3, v42
	s_waitcnt lgkmcnt(0)
	v_lshlrev_b32_e32 v3, 3, v3
	v_add3_u32 v3, v12, v34, v3
	s_mov_b64 s[26:27], -1
                                        ; implicit-def: $vgpr36_vgpr37_vgpr38_vgpr39_vgpr40_vgpr41_vgpr42_vgpr43
                                        ; implicit-def: $vgpr44_vgpr45
                                        ; implicit-def: $vgpr48_vgpr49
	s_cbranch_scc1 .LBB16_19
; %bb.35:                               ;   in Loop: Header=BB16_20 Depth=1
	s_barrier
	ds_write_b64 v0, v[14:15]
	ds_write_b64 v1, v[22:23]
	;; [unrolled: 1-line block ×4, first 2 shown]
	s_waitcnt lgkmcnt(0)
	s_barrier
	ds_read2st64_b64 v[36:39], v32 offset1:1
	ds_read2st64_b64 v[40:43], v32 offset0:2 offset1:3
	s_waitcnt lgkmcnt(0)
	s_barrier
	ds_write_b64 v0, v[20:21]
	ds_write_b64 v1, v[18:19]
	;; [unrolled: 1-line block ×4, first 2 shown]
	s_waitcnt lgkmcnt(0)
	s_barrier
	ds_read2st64_b64 v[44:47], v32 offset1:1
	ds_read2st64_b64 v[48:51], v32 offset0:2 offset1:3
	s_add_i32 s35, s35, -8
	s_mov_b64 s[26:27], 0
	s_waitcnt lgkmcnt(0)
	s_barrier
	s_branch .LBB16_19
.LBB16_36:
	s_barrier
	ds_write_b64 v0, v[14:15]
	ds_write_b64 v1, v[22:23]
	;; [unrolled: 1-line block ×4, first 2 shown]
	v_lshlrev_b32_e32 v22, 3, v16
	s_waitcnt lgkmcnt(0)
	s_barrier
	ds_read2st64_b64 v[12:15], v22 offset1:4
	ds_read2st64_b64 v[8:11], v22 offset0:8 offset1:12
	s_waitcnt lgkmcnt(0)
	s_barrier
	ds_write_b64 v0, v[20:21]
	ds_write_b64 v1, v[18:19]
	;; [unrolled: 1-line block ×4, first 2 shown]
	s_waitcnt lgkmcnt(0)
	s_barrier
	ds_read2st64_b64 v[4:7], v22 offset1:4
	ds_read2st64_b64 v[0:3], v22 offset0:8 offset1:12
	s_add_u32 s0, s38, s28
	s_addc_u32 s1, s39, s29
	v_mov_b32_e32 v23, 0
	s_andn2_b64 vcc, exec, s[30:31]
	v_lshl_add_u64 v[18:19], s[0:1], 0, v[22:23]
	s_cbranch_vccnz .LBB16_38
; %bb.37:
	v_add_co_u32_e32 v20, vcc, 0x1000, v18
	s_add_u32 s0, s42, s28
	s_nop 0
	v_addc_co_u32_e32 v21, vcc, 0, v19, vcc
	s_addc_u32 s1, s43, s29
	global_store_dwordx2 v[18:19], v[12:13], off
	global_store_dwordx2 v[18:19], v[14:15], off offset:2048
	global_store_dwordx2 v[20:21], v[8:9], off
	global_store_dwordx2 v[20:21], v[10:11], off offset:2048
	v_lshl_add_u64 v[20:21], s[0:1], 0, v[22:23]
	v_add_co_u32_e32 v20, vcc, 0x1000, v20
	s_waitcnt lgkmcnt(1)
	global_store_dwordx2 v22, v[4:5], s[0:1]
	global_store_dwordx2 v22, v[6:7], s[0:1] offset:2048
	v_addc_co_u32_e32 v21, vcc, 0, v21, vcc
	s_mov_b64 s[6:7], -1
	s_waitcnt lgkmcnt(0)
	global_store_dwordx2 v[20:21], v[0:1], off
	s_cbranch_execz .LBB16_39
	s_branch .LBB16_52
.LBB16_38:
	s_mov_b64 s[6:7], 0
.LBB16_39:
	v_cmp_gt_u32_e64 s[0:1], s33, v16
	s_and_saveexec_b64 s[2:3], s[0:1]
	s_cbranch_execz .LBB16_41
; %bb.40:
	global_store_dwordx2 v[18:19], v[12:13], off
.LBB16_41:
	s_or_b64 exec, exec, s[2:3]
	v_add_u32_e32 v12, 0x100, v16
	v_cmp_gt_u32_e64 s[2:3], s33, v12
	s_and_saveexec_b64 s[4:5], s[2:3]
	s_cbranch_execz .LBB16_43
; %bb.42:
	global_store_dwordx2 v[18:19], v[14:15], off offset:2048
.LBB16_43:
	s_or_b64 exec, exec, s[4:5]
	v_add_u32_e32 v12, 0x200, v16
	v_cmp_gt_u32_e64 s[4:5], s33, v12
	s_and_saveexec_b64 s[6:7], s[4:5]
	s_cbranch_execz .LBB16_45
; %bb.44:
	v_add_co_u32_e32 v12, vcc, 0x1000, v18
	s_nop 1
	v_addc_co_u32_e32 v13, vcc, 0, v19, vcc
	global_store_dwordx2 v[12:13], v[8:9], off
.LBB16_45:
	s_or_b64 exec, exec, s[6:7]
	v_add_u32_e32 v8, 0x300, v16
	v_cmp_gt_u32_e64 s[6:7], s33, v8
	s_and_saveexec_b64 s[8:9], s[6:7]
	s_cbranch_execz .LBB16_47
; %bb.46:
	v_add_co_u32_e32 v8, vcc, 0x1000, v18
	s_nop 1
	v_addc_co_u32_e32 v9, vcc, 0, v19, vcc
	global_store_dwordx2 v[8:9], v[10:11], off offset:2048
.LBB16_47:
	s_or_b64 exec, exec, s[8:9]
	s_add_u32 s8, s42, s28
	s_addc_u32 s9, s43, s29
	v_mov_b32_e32 v23, 0
	v_lshl_add_u64 v[8:9], s[8:9], 0, v[22:23]
	s_and_saveexec_b64 s[8:9], s[0:1]
	s_cbranch_execnz .LBB16_57
; %bb.48:
	s_or_b64 exec, exec, s[8:9]
	s_and_saveexec_b64 s[0:1], s[2:3]
	s_cbranch_execnz .LBB16_58
.LBB16_49:
	s_or_b64 exec, exec, s[0:1]
	s_and_saveexec_b64 s[0:1], s[4:5]
	s_cbranch_execz .LBB16_51
.LBB16_50:
	s_waitcnt lgkmcnt(1)
	v_add_co_u32_e32 v4, vcc, 0x1000, v8
	s_nop 1
	v_addc_co_u32_e32 v5, vcc, 0, v9, vcc
	s_waitcnt lgkmcnt(0)
	global_store_dwordx2 v[4:5], v[0:1], off
.LBB16_51:
	s_or_b64 exec, exec, s[0:1]
.LBB16_52:
	s_and_saveexec_b64 s[0:1], s[6:7]
	s_cbranch_execnz .LBB16_54
; %bb.53:
	s_endpgm
.LBB16_54:
	s_add_u32 s0, s42, s28
	s_addc_u32 s1, s43, s29
	v_mov_b32_e32 v23, 0
	s_waitcnt lgkmcnt(0)
	v_lshl_add_u64 v[0:1], s[0:1], 0, v[22:23]
	v_add_co_u32_e32 v0, vcc, 0x1000, v0
	s_nop 1
	v_addc_co_u32_e32 v1, vcc, 0, v1, vcc
	global_store_dwordx2 v[0:1], v[2:3], off offset:2048
	s_endpgm
.LBB16_55:
	global_load_dwordx2 v[44:45], v[6:7], off
	s_or_b64 exec, exec, s[8:9]
	s_and_saveexec_b64 s[8:9], s[2:3]
	s_cbranch_execz .LBB16_13
.LBB16_56:
	global_load_dwordx2 v[46:47], v[6:7], off offset:512
	s_or_b64 exec, exec, s[8:9]
                                        ; implicit-def: $vgpr48_vgpr49
	s_and_saveexec_b64 s[2:3], s[4:5]
	s_cbranch_execnz .LBB16_14
	s_branch .LBB16_15
.LBB16_57:
	s_waitcnt lgkmcnt(1)
	global_store_dwordx2 v[8:9], v[4:5], off
	s_or_b64 exec, exec, s[8:9]
	s_and_saveexec_b64 s[0:1], s[2:3]
	s_cbranch_execz .LBB16_49
.LBB16_58:
	s_waitcnt lgkmcnt(1)
	global_store_dwordx2 v[8:9], v[6:7], off offset:2048
	s_or_b64 exec, exec, s[0:1]
	s_and_saveexec_b64 s[0:1], s[4:5]
	s_cbranch_execnz .LBB16_50
	s_branch .LBB16_51
	.section	.rodata,"a",@progbits
	.p2align	6, 0x0
	.amdhsa_kernel _ZN7rocprim17ROCPRIM_304000_NS6detail28radix_sort_block_sort_kernelINS1_36wrapped_radix_sort_block_sort_configINS0_13kernel_configILj256ELj4ELj4294967295EEEmN2at4cuda3cub6detail10OpaqueTypeILi8EEEEELb0EPKmPmPKSB_PSB_NS0_19identity_decomposerEEEvT1_T2_T3_T4_jT5_jj
		.amdhsa_group_segment_fixed_size 8192
		.amdhsa_private_segment_fixed_size 0
		.amdhsa_kernarg_size 304
		.amdhsa_user_sgpr_count 2
		.amdhsa_user_sgpr_dispatch_ptr 0
		.amdhsa_user_sgpr_queue_ptr 0
		.amdhsa_user_sgpr_kernarg_segment_ptr 1
		.amdhsa_user_sgpr_dispatch_id 0
		.amdhsa_user_sgpr_kernarg_preload_length 0
		.amdhsa_user_sgpr_kernarg_preload_offset 0
		.amdhsa_user_sgpr_private_segment_size 0
		.amdhsa_uses_dynamic_stack 0
		.amdhsa_enable_private_segment 0
		.amdhsa_system_sgpr_workgroup_id_x 1
		.amdhsa_system_sgpr_workgroup_id_y 0
		.amdhsa_system_sgpr_workgroup_id_z 0
		.amdhsa_system_sgpr_workgroup_info 0
		.amdhsa_system_vgpr_workitem_id 2
		.amdhsa_next_free_vgpr 52
		.amdhsa_next_free_sgpr 44
		.amdhsa_accum_offset 52
		.amdhsa_reserve_vcc 1
		.amdhsa_float_round_mode_32 0
		.amdhsa_float_round_mode_16_64 0
		.amdhsa_float_denorm_mode_32 3
		.amdhsa_float_denorm_mode_16_64 3
		.amdhsa_dx10_clamp 1
		.amdhsa_ieee_mode 1
		.amdhsa_fp16_overflow 0
		.amdhsa_tg_split 0
		.amdhsa_exception_fp_ieee_invalid_op 0
		.amdhsa_exception_fp_denorm_src 0
		.amdhsa_exception_fp_ieee_div_zero 0
		.amdhsa_exception_fp_ieee_overflow 0
		.amdhsa_exception_fp_ieee_underflow 0
		.amdhsa_exception_fp_ieee_inexact 0
		.amdhsa_exception_int_div_zero 0
	.end_amdhsa_kernel
	.section	.text._ZN7rocprim17ROCPRIM_304000_NS6detail28radix_sort_block_sort_kernelINS1_36wrapped_radix_sort_block_sort_configINS0_13kernel_configILj256ELj4ELj4294967295EEEmN2at4cuda3cub6detail10OpaqueTypeILi8EEEEELb0EPKmPmPKSB_PSB_NS0_19identity_decomposerEEEvT1_T2_T3_T4_jT5_jj,"axG",@progbits,_ZN7rocprim17ROCPRIM_304000_NS6detail28radix_sort_block_sort_kernelINS1_36wrapped_radix_sort_block_sort_configINS0_13kernel_configILj256ELj4ELj4294967295EEEmN2at4cuda3cub6detail10OpaqueTypeILi8EEEEELb0EPKmPmPKSB_PSB_NS0_19identity_decomposerEEEvT1_T2_T3_T4_jT5_jj,comdat
.Lfunc_end16:
	.size	_ZN7rocprim17ROCPRIM_304000_NS6detail28radix_sort_block_sort_kernelINS1_36wrapped_radix_sort_block_sort_configINS0_13kernel_configILj256ELj4ELj4294967295EEEmN2at4cuda3cub6detail10OpaqueTypeILi8EEEEELb0EPKmPmPKSB_PSB_NS0_19identity_decomposerEEEvT1_T2_T3_T4_jT5_jj, .Lfunc_end16-_ZN7rocprim17ROCPRIM_304000_NS6detail28radix_sort_block_sort_kernelINS1_36wrapped_radix_sort_block_sort_configINS0_13kernel_configILj256ELj4ELj4294967295EEEmN2at4cuda3cub6detail10OpaqueTypeILi8EEEEELb0EPKmPmPKSB_PSB_NS0_19identity_decomposerEEEvT1_T2_T3_T4_jT5_jj
                                        ; -- End function
	.set _ZN7rocprim17ROCPRIM_304000_NS6detail28radix_sort_block_sort_kernelINS1_36wrapped_radix_sort_block_sort_configINS0_13kernel_configILj256ELj4ELj4294967295EEEmN2at4cuda3cub6detail10OpaqueTypeILi8EEEEELb0EPKmPmPKSB_PSB_NS0_19identity_decomposerEEEvT1_T2_T3_T4_jT5_jj.num_vgpr, 52
	.set _ZN7rocprim17ROCPRIM_304000_NS6detail28radix_sort_block_sort_kernelINS1_36wrapped_radix_sort_block_sort_configINS0_13kernel_configILj256ELj4ELj4294967295EEEmN2at4cuda3cub6detail10OpaqueTypeILi8EEEEELb0EPKmPmPKSB_PSB_NS0_19identity_decomposerEEEvT1_T2_T3_T4_jT5_jj.num_agpr, 0
	.set _ZN7rocprim17ROCPRIM_304000_NS6detail28radix_sort_block_sort_kernelINS1_36wrapped_radix_sort_block_sort_configINS0_13kernel_configILj256ELj4ELj4294967295EEEmN2at4cuda3cub6detail10OpaqueTypeILi8EEEEELb0EPKmPmPKSB_PSB_NS0_19identity_decomposerEEEvT1_T2_T3_T4_jT5_jj.numbered_sgpr, 44
	.set _ZN7rocprim17ROCPRIM_304000_NS6detail28radix_sort_block_sort_kernelINS1_36wrapped_radix_sort_block_sort_configINS0_13kernel_configILj256ELj4ELj4294967295EEEmN2at4cuda3cub6detail10OpaqueTypeILi8EEEEELb0EPKmPmPKSB_PSB_NS0_19identity_decomposerEEEvT1_T2_T3_T4_jT5_jj.num_named_barrier, 0
	.set _ZN7rocprim17ROCPRIM_304000_NS6detail28radix_sort_block_sort_kernelINS1_36wrapped_radix_sort_block_sort_configINS0_13kernel_configILj256ELj4ELj4294967295EEEmN2at4cuda3cub6detail10OpaqueTypeILi8EEEEELb0EPKmPmPKSB_PSB_NS0_19identity_decomposerEEEvT1_T2_T3_T4_jT5_jj.private_seg_size, 0
	.set _ZN7rocprim17ROCPRIM_304000_NS6detail28radix_sort_block_sort_kernelINS1_36wrapped_radix_sort_block_sort_configINS0_13kernel_configILj256ELj4ELj4294967295EEEmN2at4cuda3cub6detail10OpaqueTypeILi8EEEEELb0EPKmPmPKSB_PSB_NS0_19identity_decomposerEEEvT1_T2_T3_T4_jT5_jj.uses_vcc, 1
	.set _ZN7rocprim17ROCPRIM_304000_NS6detail28radix_sort_block_sort_kernelINS1_36wrapped_radix_sort_block_sort_configINS0_13kernel_configILj256ELj4ELj4294967295EEEmN2at4cuda3cub6detail10OpaqueTypeILi8EEEEELb0EPKmPmPKSB_PSB_NS0_19identity_decomposerEEEvT1_T2_T3_T4_jT5_jj.uses_flat_scratch, 0
	.set _ZN7rocprim17ROCPRIM_304000_NS6detail28radix_sort_block_sort_kernelINS1_36wrapped_radix_sort_block_sort_configINS0_13kernel_configILj256ELj4ELj4294967295EEEmN2at4cuda3cub6detail10OpaqueTypeILi8EEEEELb0EPKmPmPKSB_PSB_NS0_19identity_decomposerEEEvT1_T2_T3_T4_jT5_jj.has_dyn_sized_stack, 0
	.set _ZN7rocprim17ROCPRIM_304000_NS6detail28radix_sort_block_sort_kernelINS1_36wrapped_radix_sort_block_sort_configINS0_13kernel_configILj256ELj4ELj4294967295EEEmN2at4cuda3cub6detail10OpaqueTypeILi8EEEEELb0EPKmPmPKSB_PSB_NS0_19identity_decomposerEEEvT1_T2_T3_T4_jT5_jj.has_recursion, 0
	.set _ZN7rocprim17ROCPRIM_304000_NS6detail28radix_sort_block_sort_kernelINS1_36wrapped_radix_sort_block_sort_configINS0_13kernel_configILj256ELj4ELj4294967295EEEmN2at4cuda3cub6detail10OpaqueTypeILi8EEEEELb0EPKmPmPKSB_PSB_NS0_19identity_decomposerEEEvT1_T2_T3_T4_jT5_jj.has_indirect_call, 0
	.section	.AMDGPU.csdata,"",@progbits
; Kernel info:
; codeLenInByte = 3868
; TotalNumSgprs: 50
; NumVgprs: 52
; NumAgprs: 0
; TotalNumVgprs: 52
; ScratchSize: 0
; MemoryBound: 1
; FloatMode: 240
; IeeeMode: 1
; LDSByteSize: 8192 bytes/workgroup (compile time only)
; SGPRBlocks: 6
; VGPRBlocks: 6
; NumSGPRsForWavesPerEU: 50
; NumVGPRsForWavesPerEU: 52
; AccumOffset: 52
; Occupancy: 8
; WaveLimiterHint : 1
; COMPUTE_PGM_RSRC2:SCRATCH_EN: 0
; COMPUTE_PGM_RSRC2:USER_SGPR: 2
; COMPUTE_PGM_RSRC2:TRAP_HANDLER: 0
; COMPUTE_PGM_RSRC2:TGID_X_EN: 1
; COMPUTE_PGM_RSRC2:TGID_Y_EN: 0
; COMPUTE_PGM_RSRC2:TGID_Z_EN: 0
; COMPUTE_PGM_RSRC2:TIDIG_COMP_CNT: 2
; COMPUTE_PGM_RSRC3_GFX90A:ACCUM_OFFSET: 12
; COMPUTE_PGM_RSRC3_GFX90A:TG_SPLIT: 0
	.section	.text._ZN7rocprim17ROCPRIM_304000_NS6detail45device_block_merge_mergepath_partition_kernelINS1_37wrapped_merge_sort_block_merge_configINS0_14default_configEmN2at4cuda3cub6detail10OpaqueTypeILi8EEEEEPmjNS1_19radix_merge_compareILb0ELb0EmNS0_19identity_decomposerEEEEEvT0_T1_jPSH_T2_SH_,"axG",@progbits,_ZN7rocprim17ROCPRIM_304000_NS6detail45device_block_merge_mergepath_partition_kernelINS1_37wrapped_merge_sort_block_merge_configINS0_14default_configEmN2at4cuda3cub6detail10OpaqueTypeILi8EEEEEPmjNS1_19radix_merge_compareILb0ELb0EmNS0_19identity_decomposerEEEEEvT0_T1_jPSH_T2_SH_,comdat
	.protected	_ZN7rocprim17ROCPRIM_304000_NS6detail45device_block_merge_mergepath_partition_kernelINS1_37wrapped_merge_sort_block_merge_configINS0_14default_configEmN2at4cuda3cub6detail10OpaqueTypeILi8EEEEEPmjNS1_19radix_merge_compareILb0ELb0EmNS0_19identity_decomposerEEEEEvT0_T1_jPSH_T2_SH_ ; -- Begin function _ZN7rocprim17ROCPRIM_304000_NS6detail45device_block_merge_mergepath_partition_kernelINS1_37wrapped_merge_sort_block_merge_configINS0_14default_configEmN2at4cuda3cub6detail10OpaqueTypeILi8EEEEEPmjNS1_19radix_merge_compareILb0ELb0EmNS0_19identity_decomposerEEEEEvT0_T1_jPSH_T2_SH_
	.globl	_ZN7rocprim17ROCPRIM_304000_NS6detail45device_block_merge_mergepath_partition_kernelINS1_37wrapped_merge_sort_block_merge_configINS0_14default_configEmN2at4cuda3cub6detail10OpaqueTypeILi8EEEEEPmjNS1_19radix_merge_compareILb0ELb0EmNS0_19identity_decomposerEEEEEvT0_T1_jPSH_T2_SH_
	.p2align	8
	.type	_ZN7rocprim17ROCPRIM_304000_NS6detail45device_block_merge_mergepath_partition_kernelINS1_37wrapped_merge_sort_block_merge_configINS0_14default_configEmN2at4cuda3cub6detail10OpaqueTypeILi8EEEEEPmjNS1_19radix_merge_compareILb0ELb0EmNS0_19identity_decomposerEEEEEvT0_T1_jPSH_T2_SH_,@function
_ZN7rocprim17ROCPRIM_304000_NS6detail45device_block_merge_mergepath_partition_kernelINS1_37wrapped_merge_sort_block_merge_configINS0_14default_configEmN2at4cuda3cub6detail10OpaqueTypeILi8EEEEEPmjNS1_19radix_merge_compareILb0ELb0EmNS0_19identity_decomposerEEEEEvT0_T1_jPSH_T2_SH_: ; @_ZN7rocprim17ROCPRIM_304000_NS6detail45device_block_merge_mergepath_partition_kernelINS1_37wrapped_merge_sort_block_merge_configINS0_14default_configEmN2at4cuda3cub6detail10OpaqueTypeILi8EEEEEPmjNS1_19radix_merge_compareILb0ELb0EmNS0_19identity_decomposerEEEEEvT0_T1_jPSH_T2_SH_
; %bb.0:
	s_load_dwordx2 s[4:5], s[0:1], 0x8
	v_lshl_or_b32 v0, s2, 7, v0
	s_waitcnt lgkmcnt(0)
	v_cmp_gt_u32_e32 vcc, s5, v0
	s_and_saveexec_b64 s[2:3], vcc
	s_cbranch_execz .LBB17_6
; %bb.1:
	s_load_dword s2, s[0:1], 0x1c
	s_waitcnt lgkmcnt(0)
	s_lshr_b32 s3, s2, 9
	s_and_b32 s3, s3, 0x7ffffe
	s_add_i32 s5, s3, -1
	s_sub_i32 s3, 0, s3
	v_and_b32_e32 v1, s3, v0
	v_and_b32_e32 v2, s5, v0
	v_lshlrev_b32_e32 v1, 10, v1
	v_lshlrev_b32_e32 v3, 10, v2
	v_min_u32_e32 v2, s4, v1
	v_add_u32_e32 v1, s2, v1
	v_min_u32_e32 v4, s4, v1
	v_add_u32_e32 v1, s2, v4
	v_min_u32_e32 v1, s4, v1
	v_sub_u32_e32 v5, v1, v2
	v_min_u32_e32 v10, v5, v3
	v_sub_u32_e32 v3, v4, v2
	v_sub_u32_e32 v1, v1, v4
	v_sub_u32_e64 v1, v10, v1 clamp
	v_min_u32_e32 v11, v10, v3
	v_cmp_lt_u32_e32 vcc, v1, v11
	s_and_saveexec_b64 s[2:3], vcc
	s_cbranch_execz .LBB17_5
; %bb.2:
	s_load_dwordx2 s[4:5], s[0:1], 0x0
	v_mov_b32_e32 v5, 0
	v_mov_b32_e32 v3, v5
	s_waitcnt lgkmcnt(0)
	v_lshl_add_u64 v[6:7], v[2:3], 3, s[4:5]
	v_lshl_add_u64 v[8:9], v[4:5], 3, s[4:5]
	s_mov_b64 s[4:5], 0
.LBB17_3:                               ; =>This Inner Loop Header: Depth=1
	v_add_u32_e32 v3, v11, v1
	v_lshrrev_b32_e32 v4, 1, v3
	v_mov_b32_e32 v13, v5
	v_xad_u32 v12, v4, -1, v10
	v_lshl_add_u64 v[14:15], v[4:5], 3, v[6:7]
	v_lshl_add_u64 v[12:13], v[12:13], 3, v[8:9]
	global_load_dwordx2 v[16:17], v[14:15], off
	global_load_dwordx2 v[18:19], v[12:13], off
	v_add_u32_e32 v3, 1, v4
	s_waitcnt vmcnt(0)
	v_cmp_gt_u64_e32 vcc, v[16:17], v[18:19]
	s_nop 1
	v_cndmask_b32_e32 v11, v11, v4, vcc
	v_cndmask_b32_e32 v1, v3, v1, vcc
	v_cmp_ge_u32_e32 vcc, v1, v11
	s_or_b64 s[4:5], vcc, s[4:5]
	s_andn2_b64 exec, exec, s[4:5]
	s_cbranch_execnz .LBB17_3
; %bb.4:
	s_or_b64 exec, exec, s[4:5]
.LBB17_5:
	s_or_b64 exec, exec, s[2:3]
	s_load_dwordx2 s[0:1], s[0:1], 0x10
	v_add_u32_e32 v2, v1, v2
	v_mov_b32_e32 v1, 0
	s_waitcnt lgkmcnt(0)
	v_lshl_add_u64 v[0:1], v[0:1], 2, s[0:1]
	global_store_dword v[0:1], v2, off
.LBB17_6:
	s_endpgm
	.section	.rodata,"a",@progbits
	.p2align	6, 0x0
	.amdhsa_kernel _ZN7rocprim17ROCPRIM_304000_NS6detail45device_block_merge_mergepath_partition_kernelINS1_37wrapped_merge_sort_block_merge_configINS0_14default_configEmN2at4cuda3cub6detail10OpaqueTypeILi8EEEEEPmjNS1_19radix_merge_compareILb0ELb0EmNS0_19identity_decomposerEEEEEvT0_T1_jPSH_T2_SH_
		.amdhsa_group_segment_fixed_size 0
		.amdhsa_private_segment_fixed_size 0
		.amdhsa_kernarg_size 32
		.amdhsa_user_sgpr_count 2
		.amdhsa_user_sgpr_dispatch_ptr 0
		.amdhsa_user_sgpr_queue_ptr 0
		.amdhsa_user_sgpr_kernarg_segment_ptr 1
		.amdhsa_user_sgpr_dispatch_id 0
		.amdhsa_user_sgpr_kernarg_preload_length 0
		.amdhsa_user_sgpr_kernarg_preload_offset 0
		.amdhsa_user_sgpr_private_segment_size 0
		.amdhsa_uses_dynamic_stack 0
		.amdhsa_enable_private_segment 0
		.amdhsa_system_sgpr_workgroup_id_x 1
		.amdhsa_system_sgpr_workgroup_id_y 0
		.amdhsa_system_sgpr_workgroup_id_z 0
		.amdhsa_system_sgpr_workgroup_info 0
		.amdhsa_system_vgpr_workitem_id 0
		.amdhsa_next_free_vgpr 20
		.amdhsa_next_free_sgpr 6
		.amdhsa_accum_offset 20
		.amdhsa_reserve_vcc 1
		.amdhsa_float_round_mode_32 0
		.amdhsa_float_round_mode_16_64 0
		.amdhsa_float_denorm_mode_32 3
		.amdhsa_float_denorm_mode_16_64 3
		.amdhsa_dx10_clamp 1
		.amdhsa_ieee_mode 1
		.amdhsa_fp16_overflow 0
		.amdhsa_tg_split 0
		.amdhsa_exception_fp_ieee_invalid_op 0
		.amdhsa_exception_fp_denorm_src 0
		.amdhsa_exception_fp_ieee_div_zero 0
		.amdhsa_exception_fp_ieee_overflow 0
		.amdhsa_exception_fp_ieee_underflow 0
		.amdhsa_exception_fp_ieee_inexact 0
		.amdhsa_exception_int_div_zero 0
	.end_amdhsa_kernel
	.section	.text._ZN7rocprim17ROCPRIM_304000_NS6detail45device_block_merge_mergepath_partition_kernelINS1_37wrapped_merge_sort_block_merge_configINS0_14default_configEmN2at4cuda3cub6detail10OpaqueTypeILi8EEEEEPmjNS1_19radix_merge_compareILb0ELb0EmNS0_19identity_decomposerEEEEEvT0_T1_jPSH_T2_SH_,"axG",@progbits,_ZN7rocprim17ROCPRIM_304000_NS6detail45device_block_merge_mergepath_partition_kernelINS1_37wrapped_merge_sort_block_merge_configINS0_14default_configEmN2at4cuda3cub6detail10OpaqueTypeILi8EEEEEPmjNS1_19radix_merge_compareILb0ELb0EmNS0_19identity_decomposerEEEEEvT0_T1_jPSH_T2_SH_,comdat
.Lfunc_end17:
	.size	_ZN7rocprim17ROCPRIM_304000_NS6detail45device_block_merge_mergepath_partition_kernelINS1_37wrapped_merge_sort_block_merge_configINS0_14default_configEmN2at4cuda3cub6detail10OpaqueTypeILi8EEEEEPmjNS1_19radix_merge_compareILb0ELb0EmNS0_19identity_decomposerEEEEEvT0_T1_jPSH_T2_SH_, .Lfunc_end17-_ZN7rocprim17ROCPRIM_304000_NS6detail45device_block_merge_mergepath_partition_kernelINS1_37wrapped_merge_sort_block_merge_configINS0_14default_configEmN2at4cuda3cub6detail10OpaqueTypeILi8EEEEEPmjNS1_19radix_merge_compareILb0ELb0EmNS0_19identity_decomposerEEEEEvT0_T1_jPSH_T2_SH_
                                        ; -- End function
	.set _ZN7rocprim17ROCPRIM_304000_NS6detail45device_block_merge_mergepath_partition_kernelINS1_37wrapped_merge_sort_block_merge_configINS0_14default_configEmN2at4cuda3cub6detail10OpaqueTypeILi8EEEEEPmjNS1_19radix_merge_compareILb0ELb0EmNS0_19identity_decomposerEEEEEvT0_T1_jPSH_T2_SH_.num_vgpr, 20
	.set _ZN7rocprim17ROCPRIM_304000_NS6detail45device_block_merge_mergepath_partition_kernelINS1_37wrapped_merge_sort_block_merge_configINS0_14default_configEmN2at4cuda3cub6detail10OpaqueTypeILi8EEEEEPmjNS1_19radix_merge_compareILb0ELb0EmNS0_19identity_decomposerEEEEEvT0_T1_jPSH_T2_SH_.num_agpr, 0
	.set _ZN7rocprim17ROCPRIM_304000_NS6detail45device_block_merge_mergepath_partition_kernelINS1_37wrapped_merge_sort_block_merge_configINS0_14default_configEmN2at4cuda3cub6detail10OpaqueTypeILi8EEEEEPmjNS1_19radix_merge_compareILb0ELb0EmNS0_19identity_decomposerEEEEEvT0_T1_jPSH_T2_SH_.numbered_sgpr, 6
	.set _ZN7rocprim17ROCPRIM_304000_NS6detail45device_block_merge_mergepath_partition_kernelINS1_37wrapped_merge_sort_block_merge_configINS0_14default_configEmN2at4cuda3cub6detail10OpaqueTypeILi8EEEEEPmjNS1_19radix_merge_compareILb0ELb0EmNS0_19identity_decomposerEEEEEvT0_T1_jPSH_T2_SH_.num_named_barrier, 0
	.set _ZN7rocprim17ROCPRIM_304000_NS6detail45device_block_merge_mergepath_partition_kernelINS1_37wrapped_merge_sort_block_merge_configINS0_14default_configEmN2at4cuda3cub6detail10OpaqueTypeILi8EEEEEPmjNS1_19radix_merge_compareILb0ELb0EmNS0_19identity_decomposerEEEEEvT0_T1_jPSH_T2_SH_.private_seg_size, 0
	.set _ZN7rocprim17ROCPRIM_304000_NS6detail45device_block_merge_mergepath_partition_kernelINS1_37wrapped_merge_sort_block_merge_configINS0_14default_configEmN2at4cuda3cub6detail10OpaqueTypeILi8EEEEEPmjNS1_19radix_merge_compareILb0ELb0EmNS0_19identity_decomposerEEEEEvT0_T1_jPSH_T2_SH_.uses_vcc, 1
	.set _ZN7rocprim17ROCPRIM_304000_NS6detail45device_block_merge_mergepath_partition_kernelINS1_37wrapped_merge_sort_block_merge_configINS0_14default_configEmN2at4cuda3cub6detail10OpaqueTypeILi8EEEEEPmjNS1_19radix_merge_compareILb0ELb0EmNS0_19identity_decomposerEEEEEvT0_T1_jPSH_T2_SH_.uses_flat_scratch, 0
	.set _ZN7rocprim17ROCPRIM_304000_NS6detail45device_block_merge_mergepath_partition_kernelINS1_37wrapped_merge_sort_block_merge_configINS0_14default_configEmN2at4cuda3cub6detail10OpaqueTypeILi8EEEEEPmjNS1_19radix_merge_compareILb0ELb0EmNS0_19identity_decomposerEEEEEvT0_T1_jPSH_T2_SH_.has_dyn_sized_stack, 0
	.set _ZN7rocprim17ROCPRIM_304000_NS6detail45device_block_merge_mergepath_partition_kernelINS1_37wrapped_merge_sort_block_merge_configINS0_14default_configEmN2at4cuda3cub6detail10OpaqueTypeILi8EEEEEPmjNS1_19radix_merge_compareILb0ELb0EmNS0_19identity_decomposerEEEEEvT0_T1_jPSH_T2_SH_.has_recursion, 0
	.set _ZN7rocprim17ROCPRIM_304000_NS6detail45device_block_merge_mergepath_partition_kernelINS1_37wrapped_merge_sort_block_merge_configINS0_14default_configEmN2at4cuda3cub6detail10OpaqueTypeILi8EEEEEPmjNS1_19radix_merge_compareILb0ELb0EmNS0_19identity_decomposerEEEEEvT0_T1_jPSH_T2_SH_.has_indirect_call, 0
	.section	.AMDGPU.csdata,"",@progbits
; Kernel info:
; codeLenInByte = 320
; TotalNumSgprs: 12
; NumVgprs: 20
; NumAgprs: 0
; TotalNumVgprs: 20
; ScratchSize: 0
; MemoryBound: 0
; FloatMode: 240
; IeeeMode: 1
; LDSByteSize: 0 bytes/workgroup (compile time only)
; SGPRBlocks: 1
; VGPRBlocks: 2
; NumSGPRsForWavesPerEU: 12
; NumVGPRsForWavesPerEU: 20
; AccumOffset: 20
; Occupancy: 8
; WaveLimiterHint : 0
; COMPUTE_PGM_RSRC2:SCRATCH_EN: 0
; COMPUTE_PGM_RSRC2:USER_SGPR: 2
; COMPUTE_PGM_RSRC2:TRAP_HANDLER: 0
; COMPUTE_PGM_RSRC2:TGID_X_EN: 1
; COMPUTE_PGM_RSRC2:TGID_Y_EN: 0
; COMPUTE_PGM_RSRC2:TGID_Z_EN: 0
; COMPUTE_PGM_RSRC2:TIDIG_COMP_CNT: 0
; COMPUTE_PGM_RSRC3_GFX90A:ACCUM_OFFSET: 4
; COMPUTE_PGM_RSRC3_GFX90A:TG_SPLIT: 0
	.section	.text._ZN7rocprim17ROCPRIM_304000_NS6detail35device_block_merge_mergepath_kernelINS1_37wrapped_merge_sort_block_merge_configINS0_14default_configEmN2at4cuda3cub6detail10OpaqueTypeILi8EEEEEPmSC_PSA_SD_jNS1_19radix_merge_compareILb0ELb0EmNS0_19identity_decomposerEEEEEvT0_T1_T2_T3_T4_SL_jT5_PKSL_NS1_7vsmem_tE,"axG",@progbits,_ZN7rocprim17ROCPRIM_304000_NS6detail35device_block_merge_mergepath_kernelINS1_37wrapped_merge_sort_block_merge_configINS0_14default_configEmN2at4cuda3cub6detail10OpaqueTypeILi8EEEEEPmSC_PSA_SD_jNS1_19radix_merge_compareILb0ELb0EmNS0_19identity_decomposerEEEEEvT0_T1_T2_T3_T4_SL_jT5_PKSL_NS1_7vsmem_tE,comdat
	.protected	_ZN7rocprim17ROCPRIM_304000_NS6detail35device_block_merge_mergepath_kernelINS1_37wrapped_merge_sort_block_merge_configINS0_14default_configEmN2at4cuda3cub6detail10OpaqueTypeILi8EEEEEPmSC_PSA_SD_jNS1_19radix_merge_compareILb0ELb0EmNS0_19identity_decomposerEEEEEvT0_T1_T2_T3_T4_SL_jT5_PKSL_NS1_7vsmem_tE ; -- Begin function _ZN7rocprim17ROCPRIM_304000_NS6detail35device_block_merge_mergepath_kernelINS1_37wrapped_merge_sort_block_merge_configINS0_14default_configEmN2at4cuda3cub6detail10OpaqueTypeILi8EEEEEPmSC_PSA_SD_jNS1_19radix_merge_compareILb0ELb0EmNS0_19identity_decomposerEEEEEvT0_T1_T2_T3_T4_SL_jT5_PKSL_NS1_7vsmem_tE
	.globl	_ZN7rocprim17ROCPRIM_304000_NS6detail35device_block_merge_mergepath_kernelINS1_37wrapped_merge_sort_block_merge_configINS0_14default_configEmN2at4cuda3cub6detail10OpaqueTypeILi8EEEEEPmSC_PSA_SD_jNS1_19radix_merge_compareILb0ELb0EmNS0_19identity_decomposerEEEEEvT0_T1_T2_T3_T4_SL_jT5_PKSL_NS1_7vsmem_tE
	.p2align	8
	.type	_ZN7rocprim17ROCPRIM_304000_NS6detail35device_block_merge_mergepath_kernelINS1_37wrapped_merge_sort_block_merge_configINS0_14default_configEmN2at4cuda3cub6detail10OpaqueTypeILi8EEEEEPmSC_PSA_SD_jNS1_19radix_merge_compareILb0ELb0EmNS0_19identity_decomposerEEEEEvT0_T1_T2_T3_T4_SL_jT5_PKSL_NS1_7vsmem_tE,@function
_ZN7rocprim17ROCPRIM_304000_NS6detail35device_block_merge_mergepath_kernelINS1_37wrapped_merge_sort_block_merge_configINS0_14default_configEmN2at4cuda3cub6detail10OpaqueTypeILi8EEEEEPmSC_PSA_SD_jNS1_19radix_merge_compareILb0ELb0EmNS0_19identity_decomposerEEEEEvT0_T1_T2_T3_T4_SL_jT5_PKSL_NS1_7vsmem_tE: ; @_ZN7rocprim17ROCPRIM_304000_NS6detail35device_block_merge_mergepath_kernelINS1_37wrapped_merge_sort_block_merge_configINS0_14default_configEmN2at4cuda3cub6detail10OpaqueTypeILi8EEEEEPmSC_PSA_SD_jNS1_19radix_merge_compareILb0ELb0EmNS0_19identity_decomposerEEEEEvT0_T1_T2_T3_T4_SL_jT5_PKSL_NS1_7vsmem_tE
; %bb.0:
	s_load_dwordx2 s[34:35], s[0:1], 0x40
	s_load_dwordx4 s[16:19], s[0:1], 0x20
	s_add_u32 s30, s0, 64
	s_addc_u32 s31, s1, 0
	s_waitcnt lgkmcnt(0)
	s_mul_i32 s4, s35, s4
	s_add_i32 s3, s4, s3
	s_mul_i32 s3, s3, s34
	s_add_i32 s6, s3, s2
	s_cmp_ge_u32 s6, s18
	s_cbranch_scc1 .LBB18_103
; %bb.1:
	s_load_dwordx8 s[8:15], s[0:1], 0x0
	s_load_dwordx2 s[4:5], s[0:1], 0x30
	s_lshr_b32 s35, s16, 10
	s_cmp_lg_u32 s6, s35
	s_mov_b32 s7, 0
	s_cselect_b64 s[20:21], -1, 0
	s_lshl_b64 s[0:1], s[6:7], 2
	s_waitcnt lgkmcnt(0)
	s_add_u32 s0, s4, s0
	s_addc_u32 s1, s5, s1
	s_load_dwordx2 s[22:23], s[0:1], 0x0
	s_lshr_b32 s0, s17, 9
	s_and_b32 s0, s0, 0x7ffffe
	s_sub_i32 s0, 0, s0
	s_and_b32 s1, s6, s0
	s_lshl_b32 s3, s1, 10
	s_lshl_b32 s18, s6, 10
	s_lshl_b32 s1, s1, 11
	s_sub_i32 s4, s18, s3
	s_add_i32 s1, s1, s17
	s_add_i32 s4, s1, s4
	s_waitcnt lgkmcnt(0)
	s_sub_i32 s5, s4, s22
	s_sub_i32 s4, s4, s23
	;; [unrolled: 1-line block ×3, first 2 shown]
	s_min_u32 s24, s16, s5
	s_addk_i32 s4, 0x400
	s_or_b32 s0, s6, s0
	s_min_u32 s3, s16, s1
	s_add_i32 s1, s1, s17
	s_cmp_eq_u32 s0, -1
	s_cselect_b32 s0, s1, s4
	s_cselect_b32 s1, s3, s23
	s_min_u32 s0, s0, s16
	s_mov_b32 s23, s7
	s_sub_i32 s19, s1, s22
	s_sub_i32 s33, s0, s24
	s_lshl_b64 s[26:27], s[22:23], 3
	s_add_u32 s0, s8, s26
	s_mov_b32 s25, s7
	s_addc_u32 s1, s9, s27
	s_lshl_b64 s[28:29], s[24:25], 3
	s_add_u32 s4, s8, s28
	s_addc_u32 s5, s9, s29
	s_cmp_lt_u32 s2, s34
	v_mov_b32_e32 v19, 0
	s_cselect_b32 s2, 12, 18
	global_load_dword v1, v19, s[30:31] offset:14
	s_add_u32 s2, s30, s2
	s_addc_u32 s3, s31, 0
	global_load_ushort v2, v19, s[2:3]
	v_cmp_gt_u32_e32 vcc, s19, v0
	s_cmp_eq_u32 s6, s35
	v_lshlrev_b32_e32 v18, 3, v0
	s_waitcnt vmcnt(1)
	v_lshrrev_b32_e32 v3, 16, v1
	v_and_b32_e32 v1, 0xffff, v1
	v_mul_lo_u32 v1, v1, v3
	s_waitcnt vmcnt(0)
	v_mul_lo_u32 v1, v1, v2
	v_add_u32_e32 v20, v1, v0
	s_cbranch_scc1 .LBB18_3
; %bb.2:
	v_subrev_u32_e32 v4, s19, v0
	v_lshlrev_b32_e32 v4, 3, v4
	v_mov_b32_e32 v5, v19
	v_lshl_add_u64 v[2:3], s[0:1], 0, v[18:19]
	v_lshl_add_u64 v[4:5], s[4:5], 0, v[4:5]
	v_cndmask_b32_e32 v3, v5, v3, vcc
	v_cndmask_b32_e32 v2, v4, v2, vcc
	v_mov_b32_e32 v21, v19
	v_subrev_co_u32_e32 v6, vcc, s19, v20
	v_mov_b32_e32 v7, v19
	v_lshl_add_u64 v[4:5], v[20:21], 3, s[0:1]
	v_lshl_add_u64 v[6:7], v[6:7], 3, s[4:5]
	v_add_u32_e32 v8, v20, v1
	v_cndmask_b32_e32 v5, v7, v5, vcc
	v_cndmask_b32_e32 v4, v6, v4, vcc
	v_mov_b32_e32 v9, v19
	v_subrev_co_u32_e32 v10, vcc, s19, v8
	v_mov_b32_e32 v11, v19
	v_lshl_add_u64 v[6:7], v[8:9], 3, s[0:1]
	v_lshl_add_u64 v[10:11], v[10:11], 3, s[4:5]
	v_cndmask_b32_e32 v6, v10, v6, vcc
	v_add_u32_e32 v10, v8, v1
	v_cndmask_b32_e32 v7, v11, v7, vcc
	v_mov_b32_e32 v11, v19
	v_subrev_co_u32_e32 v12, vcc, s19, v10
	v_mov_b32_e32 v13, v19
	v_lshl_add_u64 v[8:9], v[10:11], 3, s[0:1]
	v_lshl_add_u64 v[12:13], v[12:13], 3, s[4:5]
	v_cndmask_b32_e32 v8, v12, v8, vcc
	v_add_u32_e32 v12, v10, v1
	;; [unrolled: 8-line block ×4, first 2 shown]
	v_cndmask_b32_e32 v13, v17, v13, vcc
	v_mov_b32_e32 v17, v19
	v_subrev_co_u32_e32 v22, vcc, s19, v16
	v_mov_b32_e32 v23, v19
	v_lshl_add_u64 v[14:15], v[16:17], 3, s[0:1]
	v_lshl_add_u64 v[22:23], v[22:23], 3, s[4:5]
	v_add_u32_e32 v16, v16, v1
	v_cndmask_b32_e32 v15, v23, v15, vcc
	v_cndmask_b32_e32 v14, v22, v14, vcc
	v_lshl_add_u64 v[22:23], v[16:17], 3, s[0:1]
	v_subrev_co_u32_e32 v16, vcc, s19, v16
	v_lshl_add_u64 v[16:17], v[16:17], 3, s[4:5]
	s_nop 0
	v_cndmask_b32_e32 v17, v17, v23, vcc
	v_cndmask_b32_e32 v16, v16, v22, vcc
	global_load_dwordx2 v[2:3], v[2:3], off
	s_add_i32 s17, s33, s19
	global_load_dwordx2 v[4:5], v[4:5], off
	s_nop 0
	global_load_dwordx2 v[6:7], v[6:7], off
	s_nop 0
	;; [unrolled: 2-line block ×6, first 2 shown]
	global_load_dwordx2 v[16:17], v[16:17], off
	s_cbranch_execz .LBB18_4
	s_branch .LBB18_21
.LBB18_3:
                                        ; implicit-def: $vgpr2_vgpr3_vgpr4_vgpr5_vgpr6_vgpr7_vgpr8_vgpr9_vgpr10_vgpr11_vgpr12_vgpr13_vgpr14_vgpr15_vgpr16_vgpr17
                                        ; implicit-def: $sgpr17
.LBB18_4:
	s_add_i32 s17, s33, s19
	s_waitcnt vmcnt(7)
	v_mov_b32_e32 v2, 0
	v_cmp_gt_u32_e32 vcc, s17, v0
	v_mov_b32_e32 v3, v2
	s_waitcnt vmcnt(6)
	v_mov_b32_e32 v4, v2
	v_mov_b32_e32 v5, v2
	s_waitcnt vmcnt(5)
	v_mov_b32_e32 v6, v2
	;; [unrolled: 3-line block ×7, first 2 shown]
	v_mov_b32_e32 v17, v2
	s_and_saveexec_b64 s[2:3], vcc
	s_cbranch_execz .LBB18_6
; %bb.5:
	v_subrev_u32_e32 v3, s19, v0
	v_mov_b32_e32 v19, v2
	v_lshlrev_b32_e32 v6, 3, v3
	v_mov_b32_e32 v7, v2
	v_lshl_add_u64 v[4:5], s[0:1], 0, v[18:19]
	v_lshl_add_u64 v[6:7], s[4:5], 0, v[6:7]
	v_cmp_gt_u32_e32 vcc, s19, v0
	v_mov_b32_e32 v24, v2
	v_mov_b32_e32 v25, v2
	v_cndmask_b32_e32 v5, v7, v5, vcc
	v_cndmask_b32_e32 v4, v6, v4, vcc
	global_load_dwordx2 v[22:23], v[4:5], off
	v_mov_b32_e32 v26, v2
	v_mov_b32_e32 v27, v2
	;; [unrolled: 1-line block ×12, first 2 shown]
	s_waitcnt vmcnt(0)
	v_mov_b64_e32 v[2:3], v[22:23]
	v_mov_b64_e32 v[4:5], v[24:25]
	;; [unrolled: 1-line block ×8, first 2 shown]
.LBB18_6:
	s_or_b64 exec, exec, s[2:3]
	v_cmp_gt_u32_e32 vcc, s17, v20
	s_and_saveexec_b64 s[2:3], vcc
	s_cbranch_execz .LBB18_8
; %bb.7:
	v_mov_b32_e32 v21, 0
	v_subrev_co_u32_e32 v22, vcc, s19, v20
	v_mov_b32_e32 v23, v21
	v_lshl_add_u64 v[4:5], v[20:21], 3, s[0:1]
	v_lshl_add_u64 v[22:23], v[22:23], 3, s[4:5]
	v_cndmask_b32_e32 v5, v23, v5, vcc
	v_cndmask_b32_e32 v4, v22, v4, vcc
	global_load_dwordx2 v[4:5], v[4:5], off
.LBB18_8:
	s_or_b64 exec, exec, s[2:3]
	v_add_u32_e32 v20, v20, v1
	v_cmp_gt_u32_e32 vcc, s17, v20
	s_and_saveexec_b64 s[2:3], vcc
	s_cbranch_execz .LBB18_10
; %bb.9:
	v_mov_b32_e32 v21, 0
	v_subrev_co_u32_e32 v22, vcc, s19, v20
	v_mov_b32_e32 v23, v21
	v_lshl_add_u64 v[6:7], v[20:21], 3, s[0:1]
	v_lshl_add_u64 v[22:23], v[22:23], 3, s[4:5]
	v_cndmask_b32_e32 v7, v23, v7, vcc
	v_cndmask_b32_e32 v6, v22, v6, vcc
	global_load_dwordx2 v[6:7], v[6:7], off
.LBB18_10:
	s_or_b64 exec, exec, s[2:3]
	v_add_u32_e32 v20, v20, v1
	;; [unrolled: 15-line block ×6, first 2 shown]
	v_cmp_gt_u32_e32 vcc, s17, v20
	s_and_saveexec_b64 s[2:3], vcc
	s_cbranch_execz .LBB18_20
; %bb.19:
	v_mov_b32_e32 v21, 0
	v_lshl_add_u64 v[16:17], v[20:21], 3, s[0:1]
	v_subrev_co_u32_e32 v20, vcc, s19, v20
	v_lshl_add_u64 v[20:21], v[20:21], 3, s[4:5]
	s_nop 0
	v_cndmask_b32_e32 v17, v21, v17, vcc
	v_cndmask_b32_e32 v16, v20, v16, vcc
	global_load_dwordx2 v[16:17], v[16:17], off
.LBB18_20:
	s_or_b64 exec, exec, s[2:3]
.LBB18_21:
	v_min_u32_e32 v1, s17, v18
	v_sub_u32_e64 v19, v1, s33 clamp
	v_min_u32_e32 v20, s19, v1
	v_cmp_lt_u32_e32 vcc, v19, v20
	s_waitcnt vmcnt(0)
	ds_write2st64_b64 v18, v[2:3], v[4:5] offset1:2
	ds_write2st64_b64 v18, v[6:7], v[8:9] offset0:4 offset1:6
	ds_write2st64_b64 v18, v[10:11], v[12:13] offset0:8 offset1:10
	;; [unrolled: 1-line block ×3, first 2 shown]
	s_waitcnt lgkmcnt(0)
	s_barrier
	s_and_saveexec_b64 s[0:1], vcc
	s_cbranch_execz .LBB18_25
; %bb.22:
	v_lshlrev_b32_e32 v21, 3, v1
	v_lshl_add_u32 v21, s19, 3, v21
	s_mov_b64 s[2:3], 0
.LBB18_23:                              ; =>This Inner Loop Header: Depth=1
	v_add_u32_e32 v22, v20, v19
	v_lshrrev_b32_e32 v26, 1, v22
	v_not_b32_e32 v22, v26
	v_lshlrev_b32_e32 v23, 3, v26
	v_lshl_add_u32 v24, v22, 3, v21
	ds_read_b64 v[22:23], v23
	ds_read_b64 v[24:25], v24
	v_add_u32_e32 v27, 1, v26
	s_waitcnt lgkmcnt(0)
	v_cmp_gt_u64_e32 vcc, v[22:23], v[24:25]
	s_nop 1
	v_cndmask_b32_e32 v20, v20, v26, vcc
	v_cndmask_b32_e32 v19, v27, v19, vcc
	v_cmp_ge_u32_e32 vcc, v19, v20
	s_or_b64 s[2:3], vcc, s[2:3]
	s_andn2_b64 exec, exec, s[2:3]
	s_cbranch_execnz .LBB18_23
; %bb.24:
	s_or_b64 exec, exec, s[2:3]
.LBB18_25:
	s_or_b64 exec, exec, s[0:1]
	v_sub_u32_e32 v1, v1, v19
	v_add_u32_e32 v20, s19, v1
	v_cmp_ge_u32_e32 vcc, s19, v19
	v_cmp_ge_u32_e64 s[0:1], s17, v20
	s_or_b64 s[0:1], vcc, s[0:1]
	v_mov_b32_e32 v27, 0
	v_mov_b32_e32 v30, 0
	;; [unrolled: 1-line block ×8, first 2 shown]
	s_and_saveexec_b64 s[30:31], s[0:1]
	s_cbranch_execz .LBB18_31
; %bb.26:
	v_cmp_gt_u32_e32 vcc, s19, v19
                                        ; implicit-def: $vgpr2_vgpr3
	s_and_saveexec_b64 s[0:1], vcc
; %bb.27:
	v_lshlrev_b32_e32 v1, 3, v19
	ds_read_b64 v[2:3], v1
; %bb.28:
	s_or_b64 exec, exec, s[0:1]
	v_cmp_le_u32_e64 s[0:1], s17, v20
	v_cmp_gt_u32_e64 s[2:3], s17, v20
                                        ; implicit-def: $vgpr4_vgpr5
	s_and_saveexec_b64 s[4:5], s[2:3]
; %bb.29:
	v_lshlrev_b32_e32 v1, 3, v20
	ds_read_b64 v[4:5], v1
; %bb.30:
	s_or_b64 exec, exec, s[4:5]
	s_waitcnt lgkmcnt(0)
	v_cmp_le_u64_e64 s[2:3], v[2:3], v[4:5]
	s_and_b64 s[2:3], vcc, s[2:3]
	s_or_b64 vcc, s[0:1], s[2:3]
	v_mov_b32_e32 v27, s17
	v_mov_b32_e32 v34, s19
	v_cndmask_b32_e32 v1, v20, v19, vcc
	v_cndmask_b32_e32 v6, v27, v34, vcc
	v_add_u32_e32 v10, 1, v1
	v_add_u32_e32 v6, -1, v6
	v_min_u32_e32 v6, v10, v6
	v_lshlrev_b32_e32 v6, 3, v6
	ds_read_b64 v[6:7], v6
	v_cndmask_b32_e32 v15, v19, v10, vcc
	v_cndmask_b32_e32 v14, v10, v20, vcc
	v_cmp_gt_u32_e64 s[2:3], s19, v15
	v_cmp_le_u32_e64 s[0:1], s17, v14
	s_waitcnt lgkmcnt(0)
	v_cndmask_b32_e32 v9, v7, v5, vcc
	v_cndmask_b32_e32 v8, v6, v4, vcc
	;; [unrolled: 1-line block ×4, first 2 shown]
	v_cmp_le_u64_e64 s[4:5], v[6:7], v[8:9]
	s_and_b64 s[2:3], s[2:3], s[4:5]
	s_or_b64 s[0:1], s[0:1], s[2:3]
	v_cndmask_b32_e64 v24, v14, v15, s[0:1]
	v_cndmask_b32_e64 v10, v27, v34, s[0:1]
	v_add_u32_e32 v16, 1, v24
	v_add_u32_e32 v10, -1, v10
	v_min_u32_e32 v10, v16, v10
	v_lshlrev_b32_e32 v10, 3, v10
	ds_read_b64 v[10:11], v10
	v_cndmask_b32_e64 v20, v15, v16, s[0:1]
	v_cndmask_b32_e64 v19, v16, v14, s[0:1]
	v_cmp_gt_u32_e64 s[4:5], s19, v20
	v_cmp_le_u32_e64 s[2:3], s17, v19
	s_waitcnt lgkmcnt(0)
	v_cndmask_b32_e64 v13, v11, v9, s[0:1]
	v_cndmask_b32_e64 v12, v10, v8, s[0:1]
	v_cndmask_b32_e64 v11, v7, v11, s[0:1]
	v_cndmask_b32_e64 v10, v6, v10, s[0:1]
	v_cmp_le_u64_e64 s[6:7], v[10:11], v[12:13]
	s_and_b64 s[4:5], s[4:5], s[6:7]
	s_or_b64 s[2:3], s[2:3], s[4:5]
	v_cndmask_b32_e64 v25, v19, v20, s[2:3]
	v_cndmask_b32_e64 v14, v27, v34, s[2:3]
	v_add_u32_e32 v21, 1, v25
	v_add_u32_e32 v14, -1, v14
	v_min_u32_e32 v14, v21, v14
	v_lshlrev_b32_e32 v14, 3, v14
	ds_read_b64 v[14:15], v14
	v_cndmask_b32_e64 v28, v20, v21, s[2:3]
	v_cndmask_b32_e64 v19, v21, v19, s[2:3]
	v_cmp_gt_u32_e64 s[6:7], s19, v28
	v_cmp_le_u32_e64 s[4:5], s17, v19
	s_waitcnt lgkmcnt(0)
	v_cndmask_b32_e64 v17, v15, v13, s[2:3]
	v_cndmask_b32_e64 v16, v14, v12, s[2:3]
	;; [unrolled: 1-line block ×4, first 2 shown]
	v_cmp_le_u64_e64 s[8:9], v[14:15], v[16:17]
	s_and_b64 s[6:7], s[6:7], s[8:9]
	s_or_b64 s[4:5], s[4:5], s[6:7]
	v_cndmask_b32_e64 v26, v19, v28, s[4:5]
	v_cndmask_b32_e64 v20, v27, v34, s[4:5]
	v_add_u32_e32 v29, 1, v26
	v_add_u32_e32 v20, -1, v20
	v_min_u32_e32 v20, v29, v20
	v_lshlrev_b32_e32 v20, 3, v20
	ds_read_b64 v[20:21], v20
	v_cndmask_b32_e64 v19, v29, v19, s[4:5]
	v_cndmask_b32_e64 v29, v28, v29, s[4:5]
	v_cmp_gt_u32_e64 s[6:7], s19, v29
	v_cndmask_b32_e32 v3, v5, v3, vcc
	s_waitcnt lgkmcnt(0)
	v_cndmask_b32_e64 v23, v21, v17, s[4:5]
	v_cndmask_b32_e64 v22, v20, v16, s[4:5]
	;; [unrolled: 1-line block ×4, first 2 shown]
	v_cmp_le_u64_e64 s[8:9], v[20:21], v[22:23]
	v_cndmask_b32_e32 v2, v4, v2, vcc
	v_cmp_le_u32_e32 vcc, s17, v19
	s_and_b64 s[6:7], s[6:7], s[8:9]
	s_or_b64 vcc, vcc, s[6:7]
	v_cndmask_b32_e32 v28, v19, v29, vcc
	v_cndmask_b32_e32 v4, v27, v34, vcc
	v_add_u32_e32 v35, 1, v28
	v_add_u32_e32 v4, -1, v4
	v_min_u32_e32 v4, v35, v4
	v_lshlrev_b32_e32 v4, 3, v4
	ds_read_b64 v[30:31], v4
	v_cndmask_b32_e64 v5, v9, v7, s[0:1]
	v_cndmask_b32_e64 v4, v8, v6, s[0:1]
	;; [unrolled: 1-line block ×4, first 2 shown]
	s_waitcnt lgkmcnt(0)
	v_cndmask_b32_e32 v13, v31, v23, vcc
	v_cndmask_b32_e32 v12, v30, v22, vcc
	;; [unrolled: 1-line block ×6, first 2 shown]
	v_cmp_gt_u32_e64 s[2:3], s19, v35
	v_cmp_le_u64_e64 s[6:7], v[32:33], v[12:13]
	v_cmp_le_u32_e64 s[0:1], s17, v19
	s_and_b64 s[2:3], s[2:3], s[6:7]
	s_or_b64 s[0:1], s[0:1], s[2:3]
	v_cndmask_b32_e64 v29, v19, v35, s[0:1]
	v_cndmask_b32_e64 v8, v27, v34, s[0:1]
	v_add_u32_e32 v36, 1, v29
	v_add_u32_e32 v8, -1, v8
	v_min_u32_e32 v8, v36, v8
	v_lshlrev_b32_e32 v8, 3, v8
	ds_read_b64 v[30:31], v8
	v_cndmask_b32_e64 v9, v17, v15, s[4:5]
	v_cndmask_b32_e64 v8, v16, v14, s[4:5]
	v_cndmask_b32_e32 v11, v23, v21, vcc
	v_cndmask_b32_e32 v10, v22, v20, vcc
	s_waitcnt lgkmcnt(0)
	v_cndmask_b32_e64 v17, v31, v13, s[0:1]
	v_cndmask_b32_e64 v16, v30, v12, s[0:1]
	;; [unrolled: 1-line block ×6, first 2 shown]
	v_cmp_gt_u32_e64 s[2:3], s19, v31
	v_cmp_le_u64_e64 s[4:5], v[20:21], v[16:17]
	v_cmp_le_u32_e32 vcc, s17, v19
	s_and_b64 s[2:3], s[2:3], s[4:5]
	s_or_b64 vcc, vcc, s[2:3]
	v_cndmask_b32_e32 v30, v19, v31, vcc
	v_cndmask_b32_e32 v14, v27, v34, vcc
	v_add_u32_e32 v27, 1, v30
	v_add_u32_e32 v14, -1, v14
	v_min_u32_e32 v14, v27, v14
	v_lshlrev_b32_e32 v14, 3, v14
	ds_read_b64 v[22:23], v14
	v_cndmask_b32_e32 v15, v17, v21, vcc
	v_cndmask_b32_e32 v14, v16, v20, vcc
	v_cndmask_b32_e64 v13, v13, v33, s[0:1]
	v_cndmask_b32_e64 v12, v12, v32, s[0:1]
	s_waitcnt lgkmcnt(0)
	v_cndmask_b32_e32 v17, v23, v17, vcc
	v_cndmask_b32_e32 v16, v22, v16, vcc
	;; [unrolled: 1-line block ×6, first 2 shown]
	v_cmp_gt_u32_e64 s[0:1], s19, v22
	v_cmp_le_u64_e64 s[2:3], v[20:21], v[16:17]
	v_cmp_le_u32_e32 vcc, s17, v19
	s_and_b64 s[0:1], s[0:1], s[2:3]
	s_or_b64 vcc, vcc, s[0:1]
	v_cndmask_b32_e32 v27, v19, v22, vcc
	v_cndmask_b32_e32 v17, v17, v21, vcc
	;; [unrolled: 1-line block ×3, first 2 shown]
.LBB18_31:
	s_or_b64 exec, exec, s[30:31]
	s_add_u32 s8, s12, s26
	s_addc_u32 s9, s13, s27
	s_add_u32 s6, s12, s28
	v_cndmask_b32_e64 v19, 0, 1, s[20:21]
	v_mov_b32_e32 v21, 0
	s_addc_u32 s7, s13, s29
	v_cmp_gt_u32_e64 s[4:5], s19, v0
	v_cmp_ne_u32_e64 s[0:1], 1, v19
	s_andn2_b64 vcc, exec, s[20:21]
	v_cmp_le_u32_e64 s[2:3], s19, v0
	s_barrier
	s_cbranch_vccnz .LBB18_33
; %bb.32:
	v_subrev_u32_e32 v19, s19, v0
	v_lshlrev_b32_e32 v20, 3, v19
	v_mov_b32_e32 v19, v21
	v_lshl_add_u64 v[32:33], s[8:9], 0, v[18:19]
	v_or_b32_e32 v19, 0x80, v0
	v_lshl_add_u64 v[22:23], s[6:7], 0, v[20:21]
	v_subrev_u32_e32 v20, s19, v19
	v_cndmask_b32_e64 v23, v23, v33, s[4:5]
	v_cndmask_b32_e64 v22, v22, v32, s[4:5]
	v_min_u32_e32 v20, v19, v20
	v_mov_b32_e32 v31, s7
	v_mov_b32_e32 v46, s9
	v_cmp_gt_u32_e32 vcc, s19, v19
	v_mov_b32_e32 v47, s6
	v_mov_b32_e32 v48, s8
	global_load_dwordx2 v[32:33], v[22:23], off
	v_cndmask_b32_e32 v23, v31, v46, vcc
	v_cndmask_b32_e32 v22, v47, v48, vcc
	v_lshlrev_b32_e32 v20, 3, v20
	v_or_b32_e32 v19, 0x100, v0
	v_lshl_add_u64 v[22:23], v[22:23], 0, v[20:21]
	v_subrev_u32_e32 v20, s19, v19
	v_min_u32_e32 v20, v19, v20
	v_cmp_gt_u32_e32 vcc, s19, v19
	global_load_dwordx2 v[34:35], v[22:23], off
	v_lshlrev_b32_e32 v20, 3, v20
	v_cndmask_b32_e32 v23, v31, v46, vcc
	v_cndmask_b32_e32 v22, v47, v48, vcc
	v_or_b32_e32 v19, 0x180, v0
	v_lshl_add_u64 v[22:23], v[22:23], 0, v[20:21]
	v_subrev_u32_e32 v20, s19, v19
	v_min_u32_e32 v20, v19, v20
	v_cmp_gt_u32_e32 vcc, s19, v19
	global_load_dwordx2 v[36:37], v[22:23], off
	v_lshlrev_b32_e32 v20, 3, v20
	v_cndmask_b32_e32 v23, v31, v46, vcc
	v_cndmask_b32_e32 v22, v47, v48, vcc
	;; [unrolled: 9-line block ×5, first 2 shown]
	v_lshl_add_u64 v[20:21], v[22:23], 0, v[20:21]
	global_load_dwordx2 v[44:45], v[20:21], off
	v_or_b32_e32 v19, 0x380, v0
	v_subrev_u32_e32 v20, s19, v19
	v_cmp_gt_u32_e32 vcc, s19, v19
	v_min_u32_e32 v22, v19, v20
	s_nop 0
	v_cndmask_b32_e32 v21, v31, v46, vcc
	v_cndmask_b32_e32 v20, v47, v48, vcc
	s_mov_b64 s[4:5], -1
	s_waitcnt vmcnt(5)
	ds_write2st64_b64 v18, v[32:33], v[34:35] offset1:2
	s_waitcnt vmcnt(3)
	ds_write2st64_b64 v18, v[36:37], v[38:39] offset0:4 offset1:6
	s_waitcnt vmcnt(1)
	ds_write2st64_b64 v18, v[40:41], v[42:43] offset0:8 offset1:10
	s_waitcnt vmcnt(0)
	ds_write_b64 v18, v[44:45] offset:6144
	s_cbranch_execz .LBB18_34
	s_branch .LBB18_65
.LBB18_33:
	s_mov_b64 s[4:5], 0
                                        ; implicit-def: $vgpr19
                                        ; implicit-def: $vgpr20_vgpr21
                                        ; implicit-def: $vgpr22
.LBB18_34:
	s_mov_b64 s[4:5], 0
                                        ; implicit-def: $vgpr20_vgpr21
	s_and_saveexec_b64 s[26:27], s[2:3]
	s_xor_b64 s[2:3], exec, s[26:27]
	s_cbranch_execnz .LBB18_104
; %bb.35:
	s_andn2_saveexec_b64 s[2:3], s[2:3]
	s_cbranch_execnz .LBB18_107
.LBB18_36:
	s_or_b64 exec, exec, s[2:3]
	s_and_saveexec_b64 s[2:3], s[4:5]
	s_cbranch_execz .LBB18_38
.LBB18_37:
	global_load_dwordx2 v[20:21], v[20:21], off
	s_waitcnt vmcnt(0)
	ds_write_b64 v18, v[20:21]
.LBB18_38:
	s_or_b64 exec, exec, s[2:3]
	v_or_b32_e32 v19, 0x80, v0
	v_cmp_le_u32_e32 vcc, s19, v19
	s_mov_b64 s[2:3], -1
	v_mov_b64_e32 v[20:21], s[22:23]
	s_and_saveexec_b64 s[4:5], vcc
; %bb.39:
	v_subrev_u32_e32 v19, s19, v19
	v_cmp_gt_u32_e32 vcc, s33, v19
	v_mov_b64_e32 v[20:21], s[24:25]
	s_orn2_b64 s[2:3], vcc, exec
; %bb.40:
	s_or_b64 exec, exec, s[4:5]
	s_and_saveexec_b64 s[4:5], s[2:3]
	s_cbranch_execz .LBB18_42
; %bb.41:
	v_lshl_add_u64 v[20:21], v[20:21], 3, s[12:13]
	v_lshlrev_b32_e32 v22, 3, v19
	v_mov_b32_e32 v23, 0
	v_lshl_add_u64 v[20:21], v[20:21], 0, v[22:23]
	global_load_dwordx2 v[20:21], v[20:21], off
	s_waitcnt vmcnt(0)
	ds_write_b64 v18, v[20:21] offset:1024
.LBB18_42:
	s_or_b64 exec, exec, s[4:5]
	v_or_b32_e32 v19, 0x100, v0
	v_cmp_le_u32_e32 vcc, s19, v19
	s_mov_b64 s[2:3], -1
	v_mov_b64_e32 v[20:21], s[22:23]
	s_and_saveexec_b64 s[4:5], vcc
; %bb.43:
	v_subrev_u32_e32 v19, s19, v19
	v_cmp_gt_u32_e32 vcc, s33, v19
	v_mov_b64_e32 v[20:21], s[24:25]
	s_orn2_b64 s[2:3], vcc, exec
; %bb.44:
	s_or_b64 exec, exec, s[4:5]
	s_and_saveexec_b64 s[4:5], s[2:3]
	s_cbranch_execz .LBB18_46
; %bb.45:
	v_lshl_add_u64 v[20:21], v[20:21], 3, s[12:13]
	v_lshlrev_b32_e32 v22, 3, v19
	v_mov_b32_e32 v23, 0
	v_lshl_add_u64 v[20:21], v[20:21], 0, v[22:23]
	global_load_dwordx2 v[20:21], v[20:21], off
	s_waitcnt vmcnt(0)
	ds_write_b64 v18, v[20:21] offset:2048
.LBB18_46:
	s_or_b64 exec, exec, s[4:5]
	v_or_b32_e32 v19, 0x180, v0
	v_cmp_le_u32_e32 vcc, s19, v19
	s_mov_b64 s[2:3], -1
	v_mov_b64_e32 v[20:21], s[22:23]
	s_and_saveexec_b64 s[4:5], vcc
; %bb.47:
	v_subrev_u32_e32 v19, s19, v19
	v_cmp_gt_u32_e32 vcc, s33, v19
	v_mov_b64_e32 v[20:21], s[24:25]
	s_orn2_b64 s[2:3], vcc, exec
; %bb.48:
	s_or_b64 exec, exec, s[4:5]
	s_and_saveexec_b64 s[4:5], s[2:3]
	s_cbranch_execz .LBB18_50
; %bb.49:
	v_lshl_add_u64 v[20:21], v[20:21], 3, s[12:13]
	v_lshlrev_b32_e32 v22, 3, v19
	v_mov_b32_e32 v23, 0
	v_lshl_add_u64 v[20:21], v[20:21], 0, v[22:23]
	global_load_dwordx2 v[20:21], v[20:21], off
	s_waitcnt vmcnt(0)
	ds_write_b64 v18, v[20:21] offset:3072
.LBB18_50:
	s_or_b64 exec, exec, s[4:5]
	v_or_b32_e32 v19, 0x200, v0
	v_cmp_le_u32_e32 vcc, s19, v19
	s_mov_b64 s[2:3], -1
	v_mov_b64_e32 v[20:21], s[22:23]
	s_and_saveexec_b64 s[4:5], vcc
; %bb.51:
	v_subrev_u32_e32 v19, s19, v19
	v_cmp_gt_u32_e32 vcc, s33, v19
	v_mov_b64_e32 v[20:21], s[24:25]
	s_orn2_b64 s[2:3], vcc, exec
; %bb.52:
	s_or_b64 exec, exec, s[4:5]
	s_and_saveexec_b64 s[4:5], s[2:3]
	s_cbranch_execz .LBB18_54
; %bb.53:
	v_lshl_add_u64 v[20:21], v[20:21], 3, s[12:13]
	v_lshlrev_b32_e32 v22, 3, v19
	v_mov_b32_e32 v23, 0
	v_lshl_add_u64 v[20:21], v[20:21], 0, v[22:23]
	global_load_dwordx2 v[20:21], v[20:21], off
	s_waitcnt vmcnt(0)
	ds_write_b64 v18, v[20:21] offset:4096
.LBB18_54:
	s_or_b64 exec, exec, s[4:5]
	v_or_b32_e32 v19, 0x280, v0
	v_cmp_le_u32_e32 vcc, s19, v19
	s_mov_b64 s[2:3], -1
	v_mov_b64_e32 v[20:21], s[22:23]
	s_and_saveexec_b64 s[4:5], vcc
; %bb.55:
	v_subrev_u32_e32 v19, s19, v19
	v_cmp_gt_u32_e32 vcc, s33, v19
	v_mov_b64_e32 v[20:21], s[24:25]
	s_orn2_b64 s[2:3], vcc, exec
; %bb.56:
	s_or_b64 exec, exec, s[4:5]
	s_and_saveexec_b64 s[4:5], s[2:3]
	s_cbranch_execz .LBB18_58
; %bb.57:
	v_lshl_add_u64 v[20:21], v[20:21], 3, s[12:13]
	v_lshlrev_b32_e32 v22, 3, v19
	v_mov_b32_e32 v23, 0
	v_lshl_add_u64 v[20:21], v[20:21], 0, v[22:23]
	global_load_dwordx2 v[20:21], v[20:21], off
	s_waitcnt vmcnt(0)
	ds_write_b64 v18, v[20:21] offset:5120
.LBB18_58:
	s_or_b64 exec, exec, s[4:5]
	v_or_b32_e32 v19, 0x300, v0
	v_cmp_le_u32_e32 vcc, s19, v19
	s_mov_b64 s[2:3], -1
	v_mov_b64_e32 v[20:21], s[22:23]
	s_and_saveexec_b64 s[4:5], vcc
; %bb.59:
	v_subrev_u32_e32 v19, s19, v19
	v_cmp_gt_u32_e32 vcc, s33, v19
	v_mov_b64_e32 v[20:21], s[24:25]
	s_orn2_b64 s[2:3], vcc, exec
; %bb.60:
	s_or_b64 exec, exec, s[4:5]
	s_and_saveexec_b64 s[4:5], s[2:3]
	s_cbranch_execz .LBB18_62
; %bb.61:
	v_lshl_add_u64 v[20:21], v[20:21], 3, s[12:13]
	v_lshlrev_b32_e32 v22, 3, v19
	v_mov_b32_e32 v23, 0
	v_lshl_add_u64 v[20:21], v[20:21], 0, v[22:23]
	global_load_dwordx2 v[20:21], v[20:21], off
	s_waitcnt vmcnt(0)
	ds_write_b64 v18, v[20:21] offset:6144
.LBB18_62:
	s_or_b64 exec, exec, s[4:5]
	v_or_b32_e32 v19, 0x380, v0
	v_cmp_le_u32_e32 vcc, s19, v19
	s_mov_b64 s[4:5], -1
	v_mov_b64_e32 v[20:21], s[8:9]
	v_mov_b32_e32 v22, v19
	s_and_saveexec_b64 s[2:3], vcc
; %bb.63:
	v_subrev_u32_e32 v22, s19, v19
	v_cmp_gt_u32_e32 vcc, s33, v22
	v_mov_b64_e32 v[20:21], s[6:7]
	s_orn2_b64 s[4:5], vcc, exec
; %bb.64:
	s_or_b64 exec, exec, s[2:3]
.LBB18_65:
	s_and_saveexec_b64 s[2:3], s[4:5]
	s_cbranch_execz .LBB18_67
; %bb.66:
	v_mov_b32_e32 v23, 0
	v_lshl_add_u64 v[20:21], v[22:23], 3, v[20:21]
	global_load_dwordx2 v[20:21], v[20:21], off
	v_lshlrev_b32_e32 v19, 3, v19
	s_waitcnt vmcnt(0)
	ds_write_b64 v19, v[20:21]
.LBB18_67:
	s_or_b64 exec, exec, s[2:3]
	s_and_b64 vcc, exec, s[0:1]
	v_add_u32_e32 v20, s18, v18
	s_waitcnt lgkmcnt(0)
	s_barrier
	s_cbranch_vccnz .LBB18_69
; %bb.68:
	v_lshlrev_b32_e32 v19, 3, v1
	v_lshlrev_b32_e32 v22, 3, v24
	;; [unrolled: 1-line block ×4, first 2 shown]
	ds_read_b64 v[34:35], v19
	ds_read_b64 v[36:37], v22
	;; [unrolled: 1-line block ×4, first 2 shown]
	v_lshlrev_b32_e32 v19, 3, v28
	v_lshlrev_b32_e32 v22, 3, v29
	;; [unrolled: 1-line block ×3, first 2 shown]
	ds_read_b64 v[42:43], v19
	ds_read_b64 v[44:45], v22
	;; [unrolled: 1-line block ×3, first 2 shown]
	v_mov_b32_e32 v21, 0
	v_lshl_add_u64 v[32:33], v[20:21], 3, s[14:15]
	s_mov_b64 s[0:1], -1
	s_waitcnt lgkmcnt(5)
	global_store_dwordx4 v[32:33], v[34:37], off
	s_waitcnt lgkmcnt(3)
	global_store_dwordx4 v[32:33], v[38:41], off offset:16
	s_waitcnt lgkmcnt(1)
	global_store_dwordx4 v[32:33], v[42:45], off offset:32
	s_waitcnt lgkmcnt(0)
	global_store_dwordx2 v[32:33], v[22:23], off offset:48
	s_cbranch_execz .LBB18_70
	s_branch .LBB18_87
.LBB18_69:
	s_mov_b64 s[0:1], 0
.LBB18_70:
	v_cmp_gt_u32_e32 vcc, s17, v18
	s_and_saveexec_b64 s[2:3], vcc
	s_cbranch_execz .LBB18_72
; %bb.71:
	v_lshlrev_b32_e32 v1, 3, v1
	ds_read_b64 v[22:23], v1
	v_mov_b32_e32 v21, 0
	v_lshl_add_u64 v[32:33], v[20:21], 3, s[14:15]
	s_waitcnt lgkmcnt(0)
	global_store_dwordx2 v[32:33], v[22:23], off
.LBB18_72:
	s_or_b64 exec, exec, s[2:3]
	v_or_b32_e32 v1, 1, v18
	v_cmp_gt_u32_e32 vcc, s17, v1
	s_and_saveexec_b64 s[2:3], vcc
	s_cbranch_execz .LBB18_74
; %bb.73:
	v_lshlrev_b32_e32 v1, 3, v24
	ds_read_b64 v[22:23], v1
	v_mov_b32_e32 v21, 0
	v_lshl_add_u64 v[32:33], v[20:21], 3, s[14:15]
	s_waitcnt lgkmcnt(0)
	global_store_dwordx2 v[32:33], v[22:23], off offset:8
.LBB18_74:
	s_or_b64 exec, exec, s[2:3]
	v_or_b32_e32 v1, 2, v18
	v_cmp_gt_u32_e32 vcc, s17, v1
	s_and_saveexec_b64 s[2:3], vcc
	s_cbranch_execz .LBB18_76
; %bb.75:
	v_lshlrev_b32_e32 v1, 3, v25
	ds_read_b64 v[22:23], v1
	v_mov_b32_e32 v21, 0
	v_lshl_add_u64 v[24:25], v[20:21], 3, s[14:15]
	s_waitcnt lgkmcnt(0)
	global_store_dwordx2 v[24:25], v[22:23], off offset:16
.LBB18_76:
	;; [unrolled: 13-line block ×6, first 2 shown]
	s_or_b64 exec, exec, s[2:3]
	v_or_b32_e32 v1, 7, v18
	v_cmp_gt_u32_e32 vcc, s17, v1
	s_and_saveexec_b64 s[2:3], vcc
; %bb.85:
	v_mov_b32_e32 v21, 0
	s_or_b64 s[0:1], s[0:1], exec
; %bb.86:
	s_or_b64 exec, exec, s[2:3]
.LBB18_87:
	s_and_saveexec_b64 s[2:3], s[0:1]
	s_cbranch_execz .LBB18_89
; %bb.88:
	v_lshlrev_b32_e32 v1, 3, v27
	ds_read_b64 v[22:23], v1
	v_lshl_add_u64 v[20:21], v[20:21], 3, s[14:15]
	s_waitcnt lgkmcnt(0)
	global_store_dwordx2 v[20:21], v[22:23], off offset:56
.LBB18_89:
	s_or_b64 exec, exec, s[2:3]
	v_lshrrev_b32_e32 v1, 2, v0
	v_lshlrev_b32_e32 v19, 3, v18
	v_lshl_add_u32 v19, v1, 3, v19
	v_and_b32_e32 v1, 24, v1
	v_or_b32_e32 v23, 0x80, v0
	v_add_u32_e32 v24, v1, v18
	v_lshrrev_b32_e32 v1, 2, v23
	v_and_b32_e32 v1, 56, v1
	v_or_b32_e32 v22, 0x100, v0
	s_barrier
	s_barrier
	ds_write2_b64 v19, v[2:3], v[4:5] offset1:1
	ds_write2_b64 v19, v[6:7], v[8:9] offset0:2 offset1:3
	ds_write2_b64 v19, v[10:11], v[12:13] offset0:4 offset1:5
	;; [unrolled: 1-line block ×3, first 2 shown]
	v_add_u32_e32 v4, v1, v18
	v_lshrrev_b32_e32 v1, 2, v22
	v_and_b32_e32 v1, 0x58, v1
	v_or_b32_e32 v21, 0x180, v0
	v_add_u32_e32 v5, v1, v18
	v_lshrrev_b32_e32 v1, 2, v21
	v_and_b32_e32 v1, 0x78, v1
	v_or_b32_e32 v20, 0x200, v0
	;; [unrolled: 4-line block ×4, first 2 shown]
	v_add_u32_e32 v25, v1, v18
	v_lshrrev_b32_e32 v1, 2, v16
	s_mov_b32 s19, 0
	v_and_b32_e32 v1, 0xd8, v1
	s_lshl_b64 s[0:1], s[18:19], 3
	v_add_u32_e32 v26, v1, v18
	v_or_b32_e32 v1, 0x380, v0
	s_add_u32 s0, s10, s0
	v_lshrrev_b32_e32 v2, 2, v1
	s_addc_u32 s1, s11, s1
	v_and_b32_e32 v2, 0xf8, v2
	v_mov_b32_e32 v19, 0
	v_add_u32_e32 v27, v2, v18
	v_lshl_add_u64 v[2:3], s[0:1], 0, v[18:19]
	s_and_b64 vcc, exec, s[20:21]
	s_waitcnt lgkmcnt(0)
	s_cbranch_vccz .LBB18_91
; %bb.90:
	s_barrier
	ds_read_b64 v[8:9], v24
	ds_read_b64 v[10:11], v4 offset:1024
	ds_read_b64 v[12:13], v5 offset:2048
	;; [unrolled: 1-line block ×7, first 2 shown]
	s_waitcnt lgkmcnt(7)
	global_store_dwordx2 v[2:3], v[8:9], off
	s_waitcnt lgkmcnt(6)
	global_store_dwordx2 v[2:3], v[10:11], off offset:1024
	s_waitcnt lgkmcnt(5)
	global_store_dwordx2 v[2:3], v[12:13], off offset:2048
	;; [unrolled: 2-line block ×3, first 2 shown]
	v_add_co_u32_e32 v8, vcc, 0x1000, v2
	s_nop 1
	v_addc_co_u32_e32 v9, vcc, 0, v3, vcc
	s_waitcnt lgkmcnt(3)
	global_store_dwordx2 v[8:9], v[28:29], off
	s_waitcnt lgkmcnt(2)
	global_store_dwordx2 v[8:9], v[30:31], off offset:1024
	s_waitcnt lgkmcnt(1)
	global_store_dwordx2 v[8:9], v[32:33], off offset:2048
	s_mov_b64 s[0:1], -1
	s_cbranch_execz .LBB18_92
	s_branch .LBB18_101
.LBB18_91:
	s_mov_b64 s[0:1], 0
                                        ; implicit-def: $vgpr18_vgpr19
.LBB18_92:
	s_barrier
	s_waitcnt lgkmcnt(0)
	ds_read_b64 v[14:15], v4 offset:1024
	ds_read_b64 v[12:13], v5 offset:2048
	;; [unrolled: 1-line block ×7, first 2 shown]
	s_sub_i32 s2, s16, s18
	v_cmp_gt_u32_e32 vcc, s2, v0
	s_and_saveexec_b64 s[0:1], vcc
	s_cbranch_execnz .LBB18_108
; %bb.93:
	s_or_b64 exec, exec, s[0:1]
	v_cmp_gt_u32_e32 vcc, s2, v23
	s_and_saveexec_b64 s[0:1], vcc
	s_cbranch_execnz .LBB18_109
.LBB18_94:
	s_or_b64 exec, exec, s[0:1]
	v_cmp_gt_u32_e32 vcc, s2, v22
	s_and_saveexec_b64 s[0:1], vcc
	s_cbranch_execnz .LBB18_110
.LBB18_95:
	s_or_b64 exec, exec, s[0:1]
	v_cmp_gt_u32_e32 vcc, s2, v21
	s_and_saveexec_b64 s[0:1], vcc
	s_cbranch_execnz .LBB18_111
.LBB18_96:
	s_or_b64 exec, exec, s[0:1]
	v_cmp_gt_u32_e32 vcc, s2, v20
	s_and_saveexec_b64 s[0:1], vcc
	s_cbranch_execnz .LBB18_112
.LBB18_97:
	s_or_b64 exec, exec, s[0:1]
	v_cmp_gt_u32_e32 vcc, s2, v17
	s_and_saveexec_b64 s[0:1], vcc
	s_cbranch_execnz .LBB18_113
.LBB18_98:
	s_or_b64 exec, exec, s[0:1]
	v_cmp_gt_u32_e32 vcc, s2, v16
	s_and_saveexec_b64 s[0:1], vcc
	s_cbranch_execz .LBB18_100
.LBB18_99:
	s_waitcnt lgkmcnt(2)
	v_add_co_u32_e32 v6, vcc, 0x1000, v2
	s_nop 1
	v_addc_co_u32_e32 v7, vcc, 0, v3, vcc
	s_waitcnt lgkmcnt(1)
	global_store_dwordx2 v[6:7], v[4:5], off offset:2048
.LBB18_100:
	s_or_b64 exec, exec, s[0:1]
	v_cmp_gt_u32_e64 s[0:1], s2, v1
.LBB18_101:
	s_and_saveexec_b64 s[2:3], s[0:1]
	s_cbranch_execz .LBB18_103
; %bb.102:
	v_add_co_u32_e32 v0, vcc, 0x1000, v2
	s_nop 1
	v_addc_co_u32_e32 v1, vcc, 0, v3, vcc
	s_waitcnt lgkmcnt(0)
	global_store_dwordx2 v[0:1], v[18:19], off offset:3072
.LBB18_103:
	s_endpgm
.LBB18_104:
	v_subrev_u32_e32 v19, s19, v0
	v_cmp_gt_u32_e32 vcc, s33, v19
                                        ; implicit-def: $vgpr20_vgpr21
	s_and_saveexec_b64 s[26:27], vcc
	s_xor_b64 s[26:27], exec, s[26:27]
; %bb.105:
	v_lshlrev_b32_e32 v20, 3, v19
	v_mov_b32_e32 v21, 0
	s_mov_b64 s[4:5], exec
	v_lshl_add_u64 v[20:21], s[6:7], 0, v[20:21]
; %bb.106:
	s_or_b64 exec, exec, s[26:27]
	s_and_b64 s[4:5], s[4:5], exec
	s_andn2_saveexec_b64 s[2:3], s[2:3]
	s_cbranch_execz .LBB18_36
.LBB18_107:
	v_mov_b32_e32 v19, 0
	v_lshl_add_u64 v[20:21], s[8:9], 0, v[18:19]
	s_or_b64 s[4:5], s[4:5], exec
	s_or_b64 exec, exec, s[2:3]
	s_and_saveexec_b64 s[2:3], s[4:5]
	s_cbranch_execnz .LBB18_37
	s_branch .LBB18_38
.LBB18_108:
	ds_read_b64 v[24:25], v24
	s_waitcnt lgkmcnt(0)
	global_store_dwordx2 v[2:3], v[24:25], off
	s_or_b64 exec, exec, s[0:1]
	v_cmp_gt_u32_e32 vcc, s2, v23
	s_and_saveexec_b64 s[0:1], vcc
	s_cbranch_execz .LBB18_94
.LBB18_109:
	s_waitcnt lgkmcnt(6)
	global_store_dwordx2 v[2:3], v[14:15], off offset:1024
	s_or_b64 exec, exec, s[0:1]
	v_cmp_gt_u32_e32 vcc, s2, v22
	s_and_saveexec_b64 s[0:1], vcc
	s_cbranch_execz .LBB18_95
.LBB18_110:
	s_waitcnt lgkmcnt(5)
	global_store_dwordx2 v[2:3], v[12:13], off offset:2048
	s_or_b64 exec, exec, s[0:1]
	v_cmp_gt_u32_e32 vcc, s2, v21
	s_and_saveexec_b64 s[0:1], vcc
	s_cbranch_execz .LBB18_96
.LBB18_111:
	s_waitcnt lgkmcnt(4)
	global_store_dwordx2 v[2:3], v[10:11], off offset:3072
	s_or_b64 exec, exec, s[0:1]
	v_cmp_gt_u32_e32 vcc, s2, v20
	s_and_saveexec_b64 s[0:1], vcc
	s_cbranch_execz .LBB18_97
.LBB18_112:
	s_waitcnt lgkmcnt(4)
	v_add_co_u32_e32 v10, vcc, 0x1000, v2
	s_nop 1
	v_addc_co_u32_e32 v11, vcc, 0, v3, vcc
	s_waitcnt lgkmcnt(3)
	global_store_dwordx2 v[10:11], v[8:9], off
	s_or_b64 exec, exec, s[0:1]
	v_cmp_gt_u32_e32 vcc, s2, v17
	s_and_saveexec_b64 s[0:1], vcc
	s_cbranch_execz .LBB18_98
.LBB18_113:
	s_waitcnt lgkmcnt(3)
	v_add_co_u32_e32 v8, vcc, 0x1000, v2
	s_nop 1
	v_addc_co_u32_e32 v9, vcc, 0, v3, vcc
	s_waitcnt lgkmcnt(2)
	global_store_dwordx2 v[8:9], v[6:7], off offset:1024
	s_or_b64 exec, exec, s[0:1]
	v_cmp_gt_u32_e32 vcc, s2, v16
	s_and_saveexec_b64 s[0:1], vcc
	s_cbranch_execnz .LBB18_99
	s_branch .LBB18_100
	.section	.rodata,"a",@progbits
	.p2align	6, 0x0
	.amdhsa_kernel _ZN7rocprim17ROCPRIM_304000_NS6detail35device_block_merge_mergepath_kernelINS1_37wrapped_merge_sort_block_merge_configINS0_14default_configEmN2at4cuda3cub6detail10OpaqueTypeILi8EEEEEPmSC_PSA_SD_jNS1_19radix_merge_compareILb0ELb0EmNS0_19identity_decomposerEEEEEvT0_T1_T2_T3_T4_SL_jT5_PKSL_NS1_7vsmem_tE
		.amdhsa_group_segment_fixed_size 8448
		.amdhsa_private_segment_fixed_size 0
		.amdhsa_kernarg_size 320
		.amdhsa_user_sgpr_count 2
		.amdhsa_user_sgpr_dispatch_ptr 0
		.amdhsa_user_sgpr_queue_ptr 0
		.amdhsa_user_sgpr_kernarg_segment_ptr 1
		.amdhsa_user_sgpr_dispatch_id 0
		.amdhsa_user_sgpr_kernarg_preload_length 0
		.amdhsa_user_sgpr_kernarg_preload_offset 0
		.amdhsa_user_sgpr_private_segment_size 0
		.amdhsa_uses_dynamic_stack 0
		.amdhsa_enable_private_segment 0
		.amdhsa_system_sgpr_workgroup_id_x 1
		.amdhsa_system_sgpr_workgroup_id_y 1
		.amdhsa_system_sgpr_workgroup_id_z 1
		.amdhsa_system_sgpr_workgroup_info 0
		.amdhsa_system_vgpr_workitem_id 0
		.amdhsa_next_free_vgpr 49
		.amdhsa_next_free_sgpr 36
		.amdhsa_accum_offset 52
		.amdhsa_reserve_vcc 1
		.amdhsa_float_round_mode_32 0
		.amdhsa_float_round_mode_16_64 0
		.amdhsa_float_denorm_mode_32 3
		.amdhsa_float_denorm_mode_16_64 3
		.amdhsa_dx10_clamp 1
		.amdhsa_ieee_mode 1
		.amdhsa_fp16_overflow 0
		.amdhsa_tg_split 0
		.amdhsa_exception_fp_ieee_invalid_op 0
		.amdhsa_exception_fp_denorm_src 0
		.amdhsa_exception_fp_ieee_div_zero 0
		.amdhsa_exception_fp_ieee_overflow 0
		.amdhsa_exception_fp_ieee_underflow 0
		.amdhsa_exception_fp_ieee_inexact 0
		.amdhsa_exception_int_div_zero 0
	.end_amdhsa_kernel
	.section	.text._ZN7rocprim17ROCPRIM_304000_NS6detail35device_block_merge_mergepath_kernelINS1_37wrapped_merge_sort_block_merge_configINS0_14default_configEmN2at4cuda3cub6detail10OpaqueTypeILi8EEEEEPmSC_PSA_SD_jNS1_19radix_merge_compareILb0ELb0EmNS0_19identity_decomposerEEEEEvT0_T1_T2_T3_T4_SL_jT5_PKSL_NS1_7vsmem_tE,"axG",@progbits,_ZN7rocprim17ROCPRIM_304000_NS6detail35device_block_merge_mergepath_kernelINS1_37wrapped_merge_sort_block_merge_configINS0_14default_configEmN2at4cuda3cub6detail10OpaqueTypeILi8EEEEEPmSC_PSA_SD_jNS1_19radix_merge_compareILb0ELb0EmNS0_19identity_decomposerEEEEEvT0_T1_T2_T3_T4_SL_jT5_PKSL_NS1_7vsmem_tE,comdat
.Lfunc_end18:
	.size	_ZN7rocprim17ROCPRIM_304000_NS6detail35device_block_merge_mergepath_kernelINS1_37wrapped_merge_sort_block_merge_configINS0_14default_configEmN2at4cuda3cub6detail10OpaqueTypeILi8EEEEEPmSC_PSA_SD_jNS1_19radix_merge_compareILb0ELb0EmNS0_19identity_decomposerEEEEEvT0_T1_T2_T3_T4_SL_jT5_PKSL_NS1_7vsmem_tE, .Lfunc_end18-_ZN7rocprim17ROCPRIM_304000_NS6detail35device_block_merge_mergepath_kernelINS1_37wrapped_merge_sort_block_merge_configINS0_14default_configEmN2at4cuda3cub6detail10OpaqueTypeILi8EEEEEPmSC_PSA_SD_jNS1_19radix_merge_compareILb0ELb0EmNS0_19identity_decomposerEEEEEvT0_T1_T2_T3_T4_SL_jT5_PKSL_NS1_7vsmem_tE
                                        ; -- End function
	.set _ZN7rocprim17ROCPRIM_304000_NS6detail35device_block_merge_mergepath_kernelINS1_37wrapped_merge_sort_block_merge_configINS0_14default_configEmN2at4cuda3cub6detail10OpaqueTypeILi8EEEEEPmSC_PSA_SD_jNS1_19radix_merge_compareILb0ELb0EmNS0_19identity_decomposerEEEEEvT0_T1_T2_T3_T4_SL_jT5_PKSL_NS1_7vsmem_tE.num_vgpr, 49
	.set _ZN7rocprim17ROCPRIM_304000_NS6detail35device_block_merge_mergepath_kernelINS1_37wrapped_merge_sort_block_merge_configINS0_14default_configEmN2at4cuda3cub6detail10OpaqueTypeILi8EEEEEPmSC_PSA_SD_jNS1_19radix_merge_compareILb0ELb0EmNS0_19identity_decomposerEEEEEvT0_T1_T2_T3_T4_SL_jT5_PKSL_NS1_7vsmem_tE.num_agpr, 0
	.set _ZN7rocprim17ROCPRIM_304000_NS6detail35device_block_merge_mergepath_kernelINS1_37wrapped_merge_sort_block_merge_configINS0_14default_configEmN2at4cuda3cub6detail10OpaqueTypeILi8EEEEEPmSC_PSA_SD_jNS1_19radix_merge_compareILb0ELb0EmNS0_19identity_decomposerEEEEEvT0_T1_T2_T3_T4_SL_jT5_PKSL_NS1_7vsmem_tE.numbered_sgpr, 36
	.set _ZN7rocprim17ROCPRIM_304000_NS6detail35device_block_merge_mergepath_kernelINS1_37wrapped_merge_sort_block_merge_configINS0_14default_configEmN2at4cuda3cub6detail10OpaqueTypeILi8EEEEEPmSC_PSA_SD_jNS1_19radix_merge_compareILb0ELb0EmNS0_19identity_decomposerEEEEEvT0_T1_T2_T3_T4_SL_jT5_PKSL_NS1_7vsmem_tE.num_named_barrier, 0
	.set _ZN7rocprim17ROCPRIM_304000_NS6detail35device_block_merge_mergepath_kernelINS1_37wrapped_merge_sort_block_merge_configINS0_14default_configEmN2at4cuda3cub6detail10OpaqueTypeILi8EEEEEPmSC_PSA_SD_jNS1_19radix_merge_compareILb0ELb0EmNS0_19identity_decomposerEEEEEvT0_T1_T2_T3_T4_SL_jT5_PKSL_NS1_7vsmem_tE.private_seg_size, 0
	.set _ZN7rocprim17ROCPRIM_304000_NS6detail35device_block_merge_mergepath_kernelINS1_37wrapped_merge_sort_block_merge_configINS0_14default_configEmN2at4cuda3cub6detail10OpaqueTypeILi8EEEEEPmSC_PSA_SD_jNS1_19radix_merge_compareILb0ELb0EmNS0_19identity_decomposerEEEEEvT0_T1_T2_T3_T4_SL_jT5_PKSL_NS1_7vsmem_tE.uses_vcc, 1
	.set _ZN7rocprim17ROCPRIM_304000_NS6detail35device_block_merge_mergepath_kernelINS1_37wrapped_merge_sort_block_merge_configINS0_14default_configEmN2at4cuda3cub6detail10OpaqueTypeILi8EEEEEPmSC_PSA_SD_jNS1_19radix_merge_compareILb0ELb0EmNS0_19identity_decomposerEEEEEvT0_T1_T2_T3_T4_SL_jT5_PKSL_NS1_7vsmem_tE.uses_flat_scratch, 0
	.set _ZN7rocprim17ROCPRIM_304000_NS6detail35device_block_merge_mergepath_kernelINS1_37wrapped_merge_sort_block_merge_configINS0_14default_configEmN2at4cuda3cub6detail10OpaqueTypeILi8EEEEEPmSC_PSA_SD_jNS1_19radix_merge_compareILb0ELb0EmNS0_19identity_decomposerEEEEEvT0_T1_T2_T3_T4_SL_jT5_PKSL_NS1_7vsmem_tE.has_dyn_sized_stack, 0
	.set _ZN7rocprim17ROCPRIM_304000_NS6detail35device_block_merge_mergepath_kernelINS1_37wrapped_merge_sort_block_merge_configINS0_14default_configEmN2at4cuda3cub6detail10OpaqueTypeILi8EEEEEPmSC_PSA_SD_jNS1_19radix_merge_compareILb0ELb0EmNS0_19identity_decomposerEEEEEvT0_T1_T2_T3_T4_SL_jT5_PKSL_NS1_7vsmem_tE.has_recursion, 0
	.set _ZN7rocprim17ROCPRIM_304000_NS6detail35device_block_merge_mergepath_kernelINS1_37wrapped_merge_sort_block_merge_configINS0_14default_configEmN2at4cuda3cub6detail10OpaqueTypeILi8EEEEEPmSC_PSA_SD_jNS1_19radix_merge_compareILb0ELb0EmNS0_19identity_decomposerEEEEEvT0_T1_T2_T3_T4_SL_jT5_PKSL_NS1_7vsmem_tE.has_indirect_call, 0
	.section	.AMDGPU.csdata,"",@progbits
; Kernel info:
; codeLenInByte = 5564
; TotalNumSgprs: 42
; NumVgprs: 49
; NumAgprs: 0
; TotalNumVgprs: 49
; ScratchSize: 0
; MemoryBound: 1
; FloatMode: 240
; IeeeMode: 1
; LDSByteSize: 8448 bytes/workgroup (compile time only)
; SGPRBlocks: 5
; VGPRBlocks: 6
; NumSGPRsForWavesPerEU: 42
; NumVGPRsForWavesPerEU: 49
; AccumOffset: 52
; Occupancy: 8
; WaveLimiterHint : 1
; COMPUTE_PGM_RSRC2:SCRATCH_EN: 0
; COMPUTE_PGM_RSRC2:USER_SGPR: 2
; COMPUTE_PGM_RSRC2:TRAP_HANDLER: 0
; COMPUTE_PGM_RSRC2:TGID_X_EN: 1
; COMPUTE_PGM_RSRC2:TGID_Y_EN: 1
; COMPUTE_PGM_RSRC2:TGID_Z_EN: 1
; COMPUTE_PGM_RSRC2:TIDIG_COMP_CNT: 0
; COMPUTE_PGM_RSRC3_GFX90A:ACCUM_OFFSET: 12
; COMPUTE_PGM_RSRC3_GFX90A:TG_SPLIT: 0
	.section	.text._ZN7rocprim17ROCPRIM_304000_NS6detail33device_block_merge_oddeven_kernelINS1_37wrapped_merge_sort_block_merge_configINS0_14default_configEmN2at4cuda3cub6detail10OpaqueTypeILi8EEEEEPmSC_PSA_SD_jNS1_19radix_merge_compareILb0ELb0EmNS0_19identity_decomposerEEEEEvT0_T1_T2_T3_T4_SL_T5_,"axG",@progbits,_ZN7rocprim17ROCPRIM_304000_NS6detail33device_block_merge_oddeven_kernelINS1_37wrapped_merge_sort_block_merge_configINS0_14default_configEmN2at4cuda3cub6detail10OpaqueTypeILi8EEEEEPmSC_PSA_SD_jNS1_19radix_merge_compareILb0ELb0EmNS0_19identity_decomposerEEEEEvT0_T1_T2_T3_T4_SL_T5_,comdat
	.protected	_ZN7rocprim17ROCPRIM_304000_NS6detail33device_block_merge_oddeven_kernelINS1_37wrapped_merge_sort_block_merge_configINS0_14default_configEmN2at4cuda3cub6detail10OpaqueTypeILi8EEEEEPmSC_PSA_SD_jNS1_19radix_merge_compareILb0ELb0EmNS0_19identity_decomposerEEEEEvT0_T1_T2_T3_T4_SL_T5_ ; -- Begin function _ZN7rocprim17ROCPRIM_304000_NS6detail33device_block_merge_oddeven_kernelINS1_37wrapped_merge_sort_block_merge_configINS0_14default_configEmN2at4cuda3cub6detail10OpaqueTypeILi8EEEEEPmSC_PSA_SD_jNS1_19radix_merge_compareILb0ELb0EmNS0_19identity_decomposerEEEEEvT0_T1_T2_T3_T4_SL_T5_
	.globl	_ZN7rocprim17ROCPRIM_304000_NS6detail33device_block_merge_oddeven_kernelINS1_37wrapped_merge_sort_block_merge_configINS0_14default_configEmN2at4cuda3cub6detail10OpaqueTypeILi8EEEEEPmSC_PSA_SD_jNS1_19radix_merge_compareILb0ELb0EmNS0_19identity_decomposerEEEEEvT0_T1_T2_T3_T4_SL_T5_
	.p2align	8
	.type	_ZN7rocprim17ROCPRIM_304000_NS6detail33device_block_merge_oddeven_kernelINS1_37wrapped_merge_sort_block_merge_configINS0_14default_configEmN2at4cuda3cub6detail10OpaqueTypeILi8EEEEEPmSC_PSA_SD_jNS1_19radix_merge_compareILb0ELb0EmNS0_19identity_decomposerEEEEEvT0_T1_T2_T3_T4_SL_T5_,@function
_ZN7rocprim17ROCPRIM_304000_NS6detail33device_block_merge_oddeven_kernelINS1_37wrapped_merge_sort_block_merge_configINS0_14default_configEmN2at4cuda3cub6detail10OpaqueTypeILi8EEEEEPmSC_PSA_SD_jNS1_19radix_merge_compareILb0ELb0EmNS0_19identity_decomposerEEEEEvT0_T1_T2_T3_T4_SL_T5_: ; @_ZN7rocprim17ROCPRIM_304000_NS6detail33device_block_merge_oddeven_kernelINS1_37wrapped_merge_sort_block_merge_configINS0_14default_configEmN2at4cuda3cub6detail10OpaqueTypeILi8EEEEEPmSC_PSA_SD_jNS1_19radix_merge_compareILb0ELb0EmNS0_19identity_decomposerEEEEEvT0_T1_T2_T3_T4_SL_T5_
; %bb.0:
	s_load_dwordx2 s[16:17], s[0:1], 0x20
	s_waitcnt lgkmcnt(0)
	s_lshr_b32 s3, s16, 8
	s_cmp_eq_u32 s2, s3
	s_cselect_b64 s[6:7], -1, 0
	s_cmp_lg_u32 s2, s3
	s_cselect_b64 s[8:9], -1, 0
	s_lshl_b32 s18, s2, 8
	s_sub_i32 s3, s16, s18
	v_cmp_gt_u32_e64 s[4:5], s3, v0
	s_or_b64 s[8:9], s[8:9], s[4:5]
	s_and_saveexec_b64 s[10:11], s[8:9]
	s_cbranch_execz .LBB19_24
; %bb.1:
	s_load_dwordx8 s[8:15], s[0:1], 0x0
	s_mov_b32 s19, 0
	s_lshl_b64 s[0:1], s[18:19], 3
	v_lshlrev_b32_e32 v1, 3, v0
	v_add_u32_e32 v0, s18, v0
	s_waitcnt lgkmcnt(0)
	s_add_u32 s20, s8, s0
	s_addc_u32 s21, s9, s1
	s_add_u32 s0, s12, s0
	s_addc_u32 s1, s13, s1
	global_load_dwordx2 v[2:3], v1, s[0:1]
	global_load_dwordx2 v[4:5], v1, s[20:21]
	s_lshr_b32 s0, s17, 8
	s_sub_i32 s1, 0, s0
	s_and_b32 s1, s2, s1
	s_and_b32 s0, s1, s0
	s_lshl_b32 s19, s1, 8
	s_sub_i32 s12, 0, s17
	s_cmp_eq_u32 s0, 0
	s_cselect_b64 s[0:1], -1, 0
	s_and_b64 s[2:3], s[0:1], exec
	s_cselect_b32 s12, s17, s12
	s_add_i32 s12, s12, s19
	s_mov_b64 s[2:3], -1
	s_cmp_gt_u32 s16, s12
	s_cbranch_scc1 .LBB19_9
; %bb.2:
	s_and_b64 vcc, exec, s[6:7]
	s_cbranch_vccz .LBB19_6
; %bb.3:
	v_cmp_gt_u32_e32 vcc, s16, v0
	s_and_saveexec_b64 s[2:3], vcc
	s_cbranch_execz .LBB19_5
; %bb.4:
	v_mov_b32_e32 v1, 0
	v_lshlrev_b64 v[6:7], 3, v[0:1]
	v_lshl_add_u64 v[8:9], s[14:15], 0, v[6:7]
	v_lshl_add_u64 v[6:7], s[10:11], 0, v[6:7]
	s_waitcnt vmcnt(0)
	global_store_dwordx2 v[6:7], v[4:5], off
	global_store_dwordx2 v[8:9], v[2:3], off
.LBB19_5:
	s_or_b64 exec, exec, s[2:3]
	s_mov_b64 s[2:3], 0
.LBB19_6:
	s_andn2_b64 vcc, exec, s[2:3]
	s_cbranch_vccnz .LBB19_8
; %bb.7:
	v_mov_b32_e32 v1, 0
	v_lshlrev_b64 v[6:7], 3, v[0:1]
	v_lshl_add_u64 v[8:9], s[10:11], 0, v[6:7]
	v_lshl_add_u64 v[6:7], s[14:15], 0, v[6:7]
	s_waitcnt vmcnt(0)
	global_store_dwordx2 v[8:9], v[4:5], off
	global_store_dwordx2 v[6:7], v[2:3], off
.LBB19_8:
	s_mov_b64 s[2:3], 0
.LBB19_9:
	s_andn2_b64 vcc, exec, s[2:3]
	s_cbranch_vccnz .LBB19_24
; %bb.10:
	s_min_u32 s13, s12, s16
	s_add_i32 s2, s13, s17
	s_min_u32 s16, s2, s16
	s_min_u32 s2, s19, s13
	s_add_i32 s19, s19, s13
	v_subrev_u32_e32 v0, s19, v0
	v_add_u32_e32 v6, s2, v0
	s_andn2_b64 vcc, exec, s[6:7]
	s_mov_b64 s[2:3], -1
	s_cbranch_vccnz .LBB19_18
; %bb.11:
	s_and_saveexec_b64 s[2:3], s[4:5]
	s_cbranch_execz .LBB19_17
; %bb.12:
	s_cmp_ge_u32 s12, s16
	v_mov_b32_e32 v7, s13
	s_cbranch_scc1 .LBB19_16
; %bb.13:
	s_mov_b64 s[4:5], 0
	v_mov_b32_e32 v8, s16
	v_mov_b32_e32 v7, s13
	;; [unrolled: 1-line block ×3, first 2 shown]
.LBB19_14:                              ; =>This Inner Loop Header: Depth=1
	v_add_u32_e32 v0, v7, v8
	v_lshrrev_b32_e32 v0, 1, v0
	v_lshl_add_u64 v[10:11], v[0:1], 3, s[8:9]
	global_load_dwordx2 v[10:11], v[10:11], off
	v_add_u32_e32 v9, 1, v0
	s_waitcnt vmcnt(0)
	v_cmp_gt_u64_e32 vcc, v[4:5], v[10:11]
	s_nop 1
	v_cndmask_b32_e64 v12, 0, 1, vcc
	v_cmp_le_u64_e32 vcc, v[10:11], v[4:5]
	s_nop 1
	v_cndmask_b32_e64 v10, 0, 1, vcc
	v_cndmask_b32_e64 v10, v10, v12, s[0:1]
	v_and_b32_e32 v10, 1, v10
	v_cmp_eq_u32_e32 vcc, 1, v10
	s_nop 1
	v_cndmask_b32_e32 v8, v0, v8, vcc
	v_cndmask_b32_e32 v7, v7, v9, vcc
	v_cmp_ge_u32_e32 vcc, v7, v8
	s_or_b64 s[4:5], vcc, s[4:5]
	s_andn2_b64 exec, exec, s[4:5]
	s_cbranch_execnz .LBB19_14
; %bb.15:
	s_or_b64 exec, exec, s[4:5]
.LBB19_16:
	v_add_u32_e32 v0, v7, v6
	v_mov_b32_e32 v1, 0
	v_lshlrev_b64 v[0:1], 3, v[0:1]
	v_lshl_add_u64 v[8:9], s[10:11], 0, v[0:1]
	v_lshl_add_u64 v[0:1], s[14:15], 0, v[0:1]
	s_waitcnt vmcnt(0)
	global_store_dwordx2 v[8:9], v[4:5], off
	global_store_dwordx2 v[0:1], v[2:3], off
.LBB19_17:
	s_or_b64 exec, exec, s[2:3]
	s_mov_b64 s[2:3], 0
.LBB19_18:
	s_andn2_b64 vcc, exec, s[2:3]
	s_cbranch_vccnz .LBB19_24
; %bb.19:
	s_cmp_ge_u32 s12, s16
	v_mov_b32_e32 v7, s13
	s_cbranch_scc1 .LBB19_23
; %bb.20:
	s_mov_b64 s[2:3], 0
	v_mov_b32_e32 v8, s16
	v_mov_b32_e32 v7, s13
	;; [unrolled: 1-line block ×3, first 2 shown]
.LBB19_21:                              ; =>This Inner Loop Header: Depth=1
	v_add_u32_e32 v0, v7, v8
	v_lshrrev_b32_e32 v0, 1, v0
	v_lshl_add_u64 v[10:11], v[0:1], 3, s[8:9]
	global_load_dwordx2 v[10:11], v[10:11], off
	v_add_u32_e32 v9, 1, v0
	s_waitcnt vmcnt(0)
	v_cmp_gt_u64_e32 vcc, v[4:5], v[10:11]
	s_nop 1
	v_cndmask_b32_e64 v12, 0, 1, vcc
	v_cmp_le_u64_e32 vcc, v[10:11], v[4:5]
	s_nop 1
	v_cndmask_b32_e64 v10, 0, 1, vcc
	v_cndmask_b32_e64 v10, v10, v12, s[0:1]
	v_and_b32_e32 v10, 1, v10
	v_cmp_eq_u32_e32 vcc, 1, v10
	s_nop 1
	v_cndmask_b32_e32 v8, v0, v8, vcc
	v_cndmask_b32_e32 v7, v7, v9, vcc
	v_cmp_ge_u32_e32 vcc, v7, v8
	s_or_b64 s[2:3], vcc, s[2:3]
	s_andn2_b64 exec, exec, s[2:3]
	s_cbranch_execnz .LBB19_21
; %bb.22:
	s_or_b64 exec, exec, s[2:3]
.LBB19_23:
	v_add_u32_e32 v0, v7, v6
	v_mov_b32_e32 v1, 0
	v_lshlrev_b64 v[0:1], 3, v[0:1]
	v_lshl_add_u64 v[6:7], s[10:11], 0, v[0:1]
	v_lshl_add_u64 v[0:1], s[14:15], 0, v[0:1]
	s_waitcnt vmcnt(0)
	global_store_dwordx2 v[6:7], v[4:5], off
	global_store_dwordx2 v[0:1], v[2:3], off
.LBB19_24:
	s_endpgm
	.section	.rodata,"a",@progbits
	.p2align	6, 0x0
	.amdhsa_kernel _ZN7rocprim17ROCPRIM_304000_NS6detail33device_block_merge_oddeven_kernelINS1_37wrapped_merge_sort_block_merge_configINS0_14default_configEmN2at4cuda3cub6detail10OpaqueTypeILi8EEEEEPmSC_PSA_SD_jNS1_19radix_merge_compareILb0ELb0EmNS0_19identity_decomposerEEEEEvT0_T1_T2_T3_T4_SL_T5_
		.amdhsa_group_segment_fixed_size 0
		.amdhsa_private_segment_fixed_size 0
		.amdhsa_kernarg_size 44
		.amdhsa_user_sgpr_count 2
		.amdhsa_user_sgpr_dispatch_ptr 0
		.amdhsa_user_sgpr_queue_ptr 0
		.amdhsa_user_sgpr_kernarg_segment_ptr 1
		.amdhsa_user_sgpr_dispatch_id 0
		.amdhsa_user_sgpr_kernarg_preload_length 0
		.amdhsa_user_sgpr_kernarg_preload_offset 0
		.amdhsa_user_sgpr_private_segment_size 0
		.amdhsa_uses_dynamic_stack 0
		.amdhsa_enable_private_segment 0
		.amdhsa_system_sgpr_workgroup_id_x 1
		.amdhsa_system_sgpr_workgroup_id_y 0
		.amdhsa_system_sgpr_workgroup_id_z 0
		.amdhsa_system_sgpr_workgroup_info 0
		.amdhsa_system_vgpr_workitem_id 0
		.amdhsa_next_free_vgpr 13
		.amdhsa_next_free_sgpr 22
		.amdhsa_accum_offset 16
		.amdhsa_reserve_vcc 1
		.amdhsa_float_round_mode_32 0
		.amdhsa_float_round_mode_16_64 0
		.amdhsa_float_denorm_mode_32 3
		.amdhsa_float_denorm_mode_16_64 3
		.amdhsa_dx10_clamp 1
		.amdhsa_ieee_mode 1
		.amdhsa_fp16_overflow 0
		.amdhsa_tg_split 0
		.amdhsa_exception_fp_ieee_invalid_op 0
		.amdhsa_exception_fp_denorm_src 0
		.amdhsa_exception_fp_ieee_div_zero 0
		.amdhsa_exception_fp_ieee_overflow 0
		.amdhsa_exception_fp_ieee_underflow 0
		.amdhsa_exception_fp_ieee_inexact 0
		.amdhsa_exception_int_div_zero 0
	.end_amdhsa_kernel
	.section	.text._ZN7rocprim17ROCPRIM_304000_NS6detail33device_block_merge_oddeven_kernelINS1_37wrapped_merge_sort_block_merge_configINS0_14default_configEmN2at4cuda3cub6detail10OpaqueTypeILi8EEEEEPmSC_PSA_SD_jNS1_19radix_merge_compareILb0ELb0EmNS0_19identity_decomposerEEEEEvT0_T1_T2_T3_T4_SL_T5_,"axG",@progbits,_ZN7rocprim17ROCPRIM_304000_NS6detail33device_block_merge_oddeven_kernelINS1_37wrapped_merge_sort_block_merge_configINS0_14default_configEmN2at4cuda3cub6detail10OpaqueTypeILi8EEEEEPmSC_PSA_SD_jNS1_19radix_merge_compareILb0ELb0EmNS0_19identity_decomposerEEEEEvT0_T1_T2_T3_T4_SL_T5_,comdat
.Lfunc_end19:
	.size	_ZN7rocprim17ROCPRIM_304000_NS6detail33device_block_merge_oddeven_kernelINS1_37wrapped_merge_sort_block_merge_configINS0_14default_configEmN2at4cuda3cub6detail10OpaqueTypeILi8EEEEEPmSC_PSA_SD_jNS1_19radix_merge_compareILb0ELb0EmNS0_19identity_decomposerEEEEEvT0_T1_T2_T3_T4_SL_T5_, .Lfunc_end19-_ZN7rocprim17ROCPRIM_304000_NS6detail33device_block_merge_oddeven_kernelINS1_37wrapped_merge_sort_block_merge_configINS0_14default_configEmN2at4cuda3cub6detail10OpaqueTypeILi8EEEEEPmSC_PSA_SD_jNS1_19radix_merge_compareILb0ELb0EmNS0_19identity_decomposerEEEEEvT0_T1_T2_T3_T4_SL_T5_
                                        ; -- End function
	.set _ZN7rocprim17ROCPRIM_304000_NS6detail33device_block_merge_oddeven_kernelINS1_37wrapped_merge_sort_block_merge_configINS0_14default_configEmN2at4cuda3cub6detail10OpaqueTypeILi8EEEEEPmSC_PSA_SD_jNS1_19radix_merge_compareILb0ELb0EmNS0_19identity_decomposerEEEEEvT0_T1_T2_T3_T4_SL_T5_.num_vgpr, 13
	.set _ZN7rocprim17ROCPRIM_304000_NS6detail33device_block_merge_oddeven_kernelINS1_37wrapped_merge_sort_block_merge_configINS0_14default_configEmN2at4cuda3cub6detail10OpaqueTypeILi8EEEEEPmSC_PSA_SD_jNS1_19radix_merge_compareILb0ELb0EmNS0_19identity_decomposerEEEEEvT0_T1_T2_T3_T4_SL_T5_.num_agpr, 0
	.set _ZN7rocprim17ROCPRIM_304000_NS6detail33device_block_merge_oddeven_kernelINS1_37wrapped_merge_sort_block_merge_configINS0_14default_configEmN2at4cuda3cub6detail10OpaqueTypeILi8EEEEEPmSC_PSA_SD_jNS1_19radix_merge_compareILb0ELb0EmNS0_19identity_decomposerEEEEEvT0_T1_T2_T3_T4_SL_T5_.numbered_sgpr, 22
	.set _ZN7rocprim17ROCPRIM_304000_NS6detail33device_block_merge_oddeven_kernelINS1_37wrapped_merge_sort_block_merge_configINS0_14default_configEmN2at4cuda3cub6detail10OpaqueTypeILi8EEEEEPmSC_PSA_SD_jNS1_19radix_merge_compareILb0ELb0EmNS0_19identity_decomposerEEEEEvT0_T1_T2_T3_T4_SL_T5_.num_named_barrier, 0
	.set _ZN7rocprim17ROCPRIM_304000_NS6detail33device_block_merge_oddeven_kernelINS1_37wrapped_merge_sort_block_merge_configINS0_14default_configEmN2at4cuda3cub6detail10OpaqueTypeILi8EEEEEPmSC_PSA_SD_jNS1_19radix_merge_compareILb0ELb0EmNS0_19identity_decomposerEEEEEvT0_T1_T2_T3_T4_SL_T5_.private_seg_size, 0
	.set _ZN7rocprim17ROCPRIM_304000_NS6detail33device_block_merge_oddeven_kernelINS1_37wrapped_merge_sort_block_merge_configINS0_14default_configEmN2at4cuda3cub6detail10OpaqueTypeILi8EEEEEPmSC_PSA_SD_jNS1_19radix_merge_compareILb0ELb0EmNS0_19identity_decomposerEEEEEvT0_T1_T2_T3_T4_SL_T5_.uses_vcc, 1
	.set _ZN7rocprim17ROCPRIM_304000_NS6detail33device_block_merge_oddeven_kernelINS1_37wrapped_merge_sort_block_merge_configINS0_14default_configEmN2at4cuda3cub6detail10OpaqueTypeILi8EEEEEPmSC_PSA_SD_jNS1_19radix_merge_compareILb0ELb0EmNS0_19identity_decomposerEEEEEvT0_T1_T2_T3_T4_SL_T5_.uses_flat_scratch, 0
	.set _ZN7rocprim17ROCPRIM_304000_NS6detail33device_block_merge_oddeven_kernelINS1_37wrapped_merge_sort_block_merge_configINS0_14default_configEmN2at4cuda3cub6detail10OpaqueTypeILi8EEEEEPmSC_PSA_SD_jNS1_19radix_merge_compareILb0ELb0EmNS0_19identity_decomposerEEEEEvT0_T1_T2_T3_T4_SL_T5_.has_dyn_sized_stack, 0
	.set _ZN7rocprim17ROCPRIM_304000_NS6detail33device_block_merge_oddeven_kernelINS1_37wrapped_merge_sort_block_merge_configINS0_14default_configEmN2at4cuda3cub6detail10OpaqueTypeILi8EEEEEPmSC_PSA_SD_jNS1_19radix_merge_compareILb0ELb0EmNS0_19identity_decomposerEEEEEvT0_T1_T2_T3_T4_SL_T5_.has_recursion, 0
	.set _ZN7rocprim17ROCPRIM_304000_NS6detail33device_block_merge_oddeven_kernelINS1_37wrapped_merge_sort_block_merge_configINS0_14default_configEmN2at4cuda3cub6detail10OpaqueTypeILi8EEEEEPmSC_PSA_SD_jNS1_19radix_merge_compareILb0ELb0EmNS0_19identity_decomposerEEEEEvT0_T1_T2_T3_T4_SL_T5_.has_indirect_call, 0
	.section	.AMDGPU.csdata,"",@progbits
; Kernel info:
; codeLenInByte = 772
; TotalNumSgprs: 28
; NumVgprs: 13
; NumAgprs: 0
; TotalNumVgprs: 13
; ScratchSize: 0
; MemoryBound: 0
; FloatMode: 240
; IeeeMode: 1
; LDSByteSize: 0 bytes/workgroup (compile time only)
; SGPRBlocks: 3
; VGPRBlocks: 1
; NumSGPRsForWavesPerEU: 28
; NumVGPRsForWavesPerEU: 13
; AccumOffset: 16
; Occupancy: 8
; WaveLimiterHint : 0
; COMPUTE_PGM_RSRC2:SCRATCH_EN: 0
; COMPUTE_PGM_RSRC2:USER_SGPR: 2
; COMPUTE_PGM_RSRC2:TRAP_HANDLER: 0
; COMPUTE_PGM_RSRC2:TGID_X_EN: 1
; COMPUTE_PGM_RSRC2:TGID_Y_EN: 0
; COMPUTE_PGM_RSRC2:TGID_Z_EN: 0
; COMPUTE_PGM_RSRC2:TIDIG_COMP_CNT: 0
; COMPUTE_PGM_RSRC3_GFX90A:ACCUM_OFFSET: 3
; COMPUTE_PGM_RSRC3_GFX90A:TG_SPLIT: 0
	.section	.text._ZN7rocprim17ROCPRIM_304000_NS6detail45device_block_merge_mergepath_partition_kernelINS1_37wrapped_merge_sort_block_merge_configINS0_14default_configEmN2at4cuda3cub6detail10OpaqueTypeILi8EEEEEPmjNS1_19radix_merge_compareILb0ELb1EmNS0_19identity_decomposerEEEEEvT0_T1_jPSH_T2_SH_,"axG",@progbits,_ZN7rocprim17ROCPRIM_304000_NS6detail45device_block_merge_mergepath_partition_kernelINS1_37wrapped_merge_sort_block_merge_configINS0_14default_configEmN2at4cuda3cub6detail10OpaqueTypeILi8EEEEEPmjNS1_19radix_merge_compareILb0ELb1EmNS0_19identity_decomposerEEEEEvT0_T1_jPSH_T2_SH_,comdat
	.protected	_ZN7rocprim17ROCPRIM_304000_NS6detail45device_block_merge_mergepath_partition_kernelINS1_37wrapped_merge_sort_block_merge_configINS0_14default_configEmN2at4cuda3cub6detail10OpaqueTypeILi8EEEEEPmjNS1_19radix_merge_compareILb0ELb1EmNS0_19identity_decomposerEEEEEvT0_T1_jPSH_T2_SH_ ; -- Begin function _ZN7rocprim17ROCPRIM_304000_NS6detail45device_block_merge_mergepath_partition_kernelINS1_37wrapped_merge_sort_block_merge_configINS0_14default_configEmN2at4cuda3cub6detail10OpaqueTypeILi8EEEEEPmjNS1_19radix_merge_compareILb0ELb1EmNS0_19identity_decomposerEEEEEvT0_T1_jPSH_T2_SH_
	.globl	_ZN7rocprim17ROCPRIM_304000_NS6detail45device_block_merge_mergepath_partition_kernelINS1_37wrapped_merge_sort_block_merge_configINS0_14default_configEmN2at4cuda3cub6detail10OpaqueTypeILi8EEEEEPmjNS1_19radix_merge_compareILb0ELb1EmNS0_19identity_decomposerEEEEEvT0_T1_jPSH_T2_SH_
	.p2align	8
	.type	_ZN7rocprim17ROCPRIM_304000_NS6detail45device_block_merge_mergepath_partition_kernelINS1_37wrapped_merge_sort_block_merge_configINS0_14default_configEmN2at4cuda3cub6detail10OpaqueTypeILi8EEEEEPmjNS1_19radix_merge_compareILb0ELb1EmNS0_19identity_decomposerEEEEEvT0_T1_jPSH_T2_SH_,@function
_ZN7rocprim17ROCPRIM_304000_NS6detail45device_block_merge_mergepath_partition_kernelINS1_37wrapped_merge_sort_block_merge_configINS0_14default_configEmN2at4cuda3cub6detail10OpaqueTypeILi8EEEEEPmjNS1_19radix_merge_compareILb0ELb1EmNS0_19identity_decomposerEEEEEvT0_T1_jPSH_T2_SH_: ; @_ZN7rocprim17ROCPRIM_304000_NS6detail45device_block_merge_mergepath_partition_kernelINS1_37wrapped_merge_sort_block_merge_configINS0_14default_configEmN2at4cuda3cub6detail10OpaqueTypeILi8EEEEEPmjNS1_19radix_merge_compareILb0ELb1EmNS0_19identity_decomposerEEEEEvT0_T1_jPSH_T2_SH_
; %bb.0:
	s_load_dwordx2 s[8:9], s[0:1], 0x8
	v_lshl_or_b32 v0, s2, 7, v0
	s_waitcnt lgkmcnt(0)
	v_cmp_gt_u32_e32 vcc, s9, v0
	s_and_saveexec_b64 s[2:3], vcc
	s_cbranch_execz .LBB20_6
; %bb.1:
	s_load_dword s2, s[0:1], 0x20
	s_load_dwordx4 s[4:7], s[0:1], 0x10
	s_waitcnt lgkmcnt(0)
	s_lshr_b32 s3, s2, 9
	s_and_b32 s3, s3, 0x7ffffe
	s_add_i32 s9, s3, -1
	s_sub_i32 s3, 0, s3
	v_and_b32_e32 v1, s3, v0
	v_lshlrev_b32_e32 v1, 10, v1
	v_min_u32_e32 v2, s8, v1
	v_add_u32_e32 v1, s2, v1
	v_min_u32_e32 v4, s8, v1
	v_add_u32_e32 v1, s2, v4
	v_and_b32_e32 v3, s9, v0
	v_min_u32_e32 v1, s8, v1
	v_sub_u32_e32 v5, v1, v2
	v_lshlrev_b32_e32 v3, 10, v3
	v_min_u32_e32 v10, v5, v3
	v_sub_u32_e32 v3, v4, v2
	v_sub_u32_e32 v1, v1, v4
	v_sub_u32_e64 v1, v10, v1 clamp
	v_min_u32_e32 v11, v10, v3
	v_cmp_lt_u32_e32 vcc, v1, v11
	s_and_saveexec_b64 s[2:3], vcc
	s_cbranch_execz .LBB20_5
; %bb.2:
	s_load_dwordx2 s[0:1], s[0:1], 0x0
	v_mov_b32_e32 v5, 0
	v_mov_b32_e32 v3, v5
	s_waitcnt lgkmcnt(0)
	v_lshl_add_u64 v[6:7], v[2:3], 3, s[0:1]
	v_lshl_add_u64 v[8:9], v[4:5], 3, s[0:1]
	s_mov_b64 s[0:1], 0
.LBB20_3:                               ; =>This Inner Loop Header: Depth=1
	v_add_u32_e32 v3, v11, v1
	v_lshrrev_b32_e32 v4, 1, v3
	v_mov_b32_e32 v13, v5
	v_xad_u32 v12, v4, -1, v10
	v_lshl_add_u64 v[14:15], v[4:5], 3, v[6:7]
	v_lshl_add_u64 v[12:13], v[12:13], 3, v[8:9]
	global_load_dwordx2 v[14:15], v[14:15], off
	v_add_u32_e32 v3, 1, v4
	global_load_dwordx2 v[12:13], v[12:13], off
	s_waitcnt vmcnt(1)
	v_and_b32_e32 v15, s7, v15
	v_and_b32_e32 v14, s6, v14
	s_waitcnt vmcnt(0)
	v_and_b32_e32 v13, s7, v13
	v_and_b32_e32 v12, s6, v12
	v_cmp_gt_u64_e32 vcc, v[14:15], v[12:13]
	s_nop 1
	v_cndmask_b32_e32 v11, v11, v4, vcc
	v_cndmask_b32_e32 v1, v3, v1, vcc
	v_cmp_ge_u32_e32 vcc, v1, v11
	s_or_b64 s[0:1], vcc, s[0:1]
	s_andn2_b64 exec, exec, s[0:1]
	s_cbranch_execnz .LBB20_3
; %bb.4:
	s_or_b64 exec, exec, s[0:1]
.LBB20_5:
	s_or_b64 exec, exec, s[2:3]
	v_mov_b32_e32 v4, s4
	v_mov_b32_e32 v5, s5
	v_add_u32_e32 v2, v1, v2
	v_mov_b32_e32 v1, 0
	v_lshl_add_u64 v[0:1], v[0:1], 2, v[4:5]
	global_store_dword v[0:1], v2, off
.LBB20_6:
	s_endpgm
	.section	.rodata,"a",@progbits
	.p2align	6, 0x0
	.amdhsa_kernel _ZN7rocprim17ROCPRIM_304000_NS6detail45device_block_merge_mergepath_partition_kernelINS1_37wrapped_merge_sort_block_merge_configINS0_14default_configEmN2at4cuda3cub6detail10OpaqueTypeILi8EEEEEPmjNS1_19radix_merge_compareILb0ELb1EmNS0_19identity_decomposerEEEEEvT0_T1_jPSH_T2_SH_
		.amdhsa_group_segment_fixed_size 0
		.amdhsa_private_segment_fixed_size 0
		.amdhsa_kernarg_size 36
		.amdhsa_user_sgpr_count 2
		.amdhsa_user_sgpr_dispatch_ptr 0
		.amdhsa_user_sgpr_queue_ptr 0
		.amdhsa_user_sgpr_kernarg_segment_ptr 1
		.amdhsa_user_sgpr_dispatch_id 0
		.amdhsa_user_sgpr_kernarg_preload_length 0
		.amdhsa_user_sgpr_kernarg_preload_offset 0
		.amdhsa_user_sgpr_private_segment_size 0
		.amdhsa_uses_dynamic_stack 0
		.amdhsa_enable_private_segment 0
		.amdhsa_system_sgpr_workgroup_id_x 1
		.amdhsa_system_sgpr_workgroup_id_y 0
		.amdhsa_system_sgpr_workgroup_id_z 0
		.amdhsa_system_sgpr_workgroup_info 0
		.amdhsa_system_vgpr_workitem_id 0
		.amdhsa_next_free_vgpr 16
		.amdhsa_next_free_sgpr 10
		.amdhsa_accum_offset 16
		.amdhsa_reserve_vcc 1
		.amdhsa_float_round_mode_32 0
		.amdhsa_float_round_mode_16_64 0
		.amdhsa_float_denorm_mode_32 3
		.amdhsa_float_denorm_mode_16_64 3
		.amdhsa_dx10_clamp 1
		.amdhsa_ieee_mode 1
		.amdhsa_fp16_overflow 0
		.amdhsa_tg_split 0
		.amdhsa_exception_fp_ieee_invalid_op 0
		.amdhsa_exception_fp_denorm_src 0
		.amdhsa_exception_fp_ieee_div_zero 0
		.amdhsa_exception_fp_ieee_overflow 0
		.amdhsa_exception_fp_ieee_underflow 0
		.amdhsa_exception_fp_ieee_inexact 0
		.amdhsa_exception_int_div_zero 0
	.end_amdhsa_kernel
	.section	.text._ZN7rocprim17ROCPRIM_304000_NS6detail45device_block_merge_mergepath_partition_kernelINS1_37wrapped_merge_sort_block_merge_configINS0_14default_configEmN2at4cuda3cub6detail10OpaqueTypeILi8EEEEEPmjNS1_19radix_merge_compareILb0ELb1EmNS0_19identity_decomposerEEEEEvT0_T1_jPSH_T2_SH_,"axG",@progbits,_ZN7rocprim17ROCPRIM_304000_NS6detail45device_block_merge_mergepath_partition_kernelINS1_37wrapped_merge_sort_block_merge_configINS0_14default_configEmN2at4cuda3cub6detail10OpaqueTypeILi8EEEEEPmjNS1_19radix_merge_compareILb0ELb1EmNS0_19identity_decomposerEEEEEvT0_T1_jPSH_T2_SH_,comdat
.Lfunc_end20:
	.size	_ZN7rocprim17ROCPRIM_304000_NS6detail45device_block_merge_mergepath_partition_kernelINS1_37wrapped_merge_sort_block_merge_configINS0_14default_configEmN2at4cuda3cub6detail10OpaqueTypeILi8EEEEEPmjNS1_19radix_merge_compareILb0ELb1EmNS0_19identity_decomposerEEEEEvT0_T1_jPSH_T2_SH_, .Lfunc_end20-_ZN7rocprim17ROCPRIM_304000_NS6detail45device_block_merge_mergepath_partition_kernelINS1_37wrapped_merge_sort_block_merge_configINS0_14default_configEmN2at4cuda3cub6detail10OpaqueTypeILi8EEEEEPmjNS1_19radix_merge_compareILb0ELb1EmNS0_19identity_decomposerEEEEEvT0_T1_jPSH_T2_SH_
                                        ; -- End function
	.set _ZN7rocprim17ROCPRIM_304000_NS6detail45device_block_merge_mergepath_partition_kernelINS1_37wrapped_merge_sort_block_merge_configINS0_14default_configEmN2at4cuda3cub6detail10OpaqueTypeILi8EEEEEPmjNS1_19radix_merge_compareILb0ELb1EmNS0_19identity_decomposerEEEEEvT0_T1_jPSH_T2_SH_.num_vgpr, 16
	.set _ZN7rocprim17ROCPRIM_304000_NS6detail45device_block_merge_mergepath_partition_kernelINS1_37wrapped_merge_sort_block_merge_configINS0_14default_configEmN2at4cuda3cub6detail10OpaqueTypeILi8EEEEEPmjNS1_19radix_merge_compareILb0ELb1EmNS0_19identity_decomposerEEEEEvT0_T1_jPSH_T2_SH_.num_agpr, 0
	.set _ZN7rocprim17ROCPRIM_304000_NS6detail45device_block_merge_mergepath_partition_kernelINS1_37wrapped_merge_sort_block_merge_configINS0_14default_configEmN2at4cuda3cub6detail10OpaqueTypeILi8EEEEEPmjNS1_19radix_merge_compareILb0ELb1EmNS0_19identity_decomposerEEEEEvT0_T1_jPSH_T2_SH_.numbered_sgpr, 10
	.set _ZN7rocprim17ROCPRIM_304000_NS6detail45device_block_merge_mergepath_partition_kernelINS1_37wrapped_merge_sort_block_merge_configINS0_14default_configEmN2at4cuda3cub6detail10OpaqueTypeILi8EEEEEPmjNS1_19radix_merge_compareILb0ELb1EmNS0_19identity_decomposerEEEEEvT0_T1_jPSH_T2_SH_.num_named_barrier, 0
	.set _ZN7rocprim17ROCPRIM_304000_NS6detail45device_block_merge_mergepath_partition_kernelINS1_37wrapped_merge_sort_block_merge_configINS0_14default_configEmN2at4cuda3cub6detail10OpaqueTypeILi8EEEEEPmjNS1_19radix_merge_compareILb0ELb1EmNS0_19identity_decomposerEEEEEvT0_T1_jPSH_T2_SH_.private_seg_size, 0
	.set _ZN7rocprim17ROCPRIM_304000_NS6detail45device_block_merge_mergepath_partition_kernelINS1_37wrapped_merge_sort_block_merge_configINS0_14default_configEmN2at4cuda3cub6detail10OpaqueTypeILi8EEEEEPmjNS1_19radix_merge_compareILb0ELb1EmNS0_19identity_decomposerEEEEEvT0_T1_jPSH_T2_SH_.uses_vcc, 1
	.set _ZN7rocprim17ROCPRIM_304000_NS6detail45device_block_merge_mergepath_partition_kernelINS1_37wrapped_merge_sort_block_merge_configINS0_14default_configEmN2at4cuda3cub6detail10OpaqueTypeILi8EEEEEPmjNS1_19radix_merge_compareILb0ELb1EmNS0_19identity_decomposerEEEEEvT0_T1_jPSH_T2_SH_.uses_flat_scratch, 0
	.set _ZN7rocprim17ROCPRIM_304000_NS6detail45device_block_merge_mergepath_partition_kernelINS1_37wrapped_merge_sort_block_merge_configINS0_14default_configEmN2at4cuda3cub6detail10OpaqueTypeILi8EEEEEPmjNS1_19radix_merge_compareILb0ELb1EmNS0_19identity_decomposerEEEEEvT0_T1_jPSH_T2_SH_.has_dyn_sized_stack, 0
	.set _ZN7rocprim17ROCPRIM_304000_NS6detail45device_block_merge_mergepath_partition_kernelINS1_37wrapped_merge_sort_block_merge_configINS0_14default_configEmN2at4cuda3cub6detail10OpaqueTypeILi8EEEEEPmjNS1_19radix_merge_compareILb0ELb1EmNS0_19identity_decomposerEEEEEvT0_T1_jPSH_T2_SH_.has_recursion, 0
	.set _ZN7rocprim17ROCPRIM_304000_NS6detail45device_block_merge_mergepath_partition_kernelINS1_37wrapped_merge_sort_block_merge_configINS0_14default_configEmN2at4cuda3cub6detail10OpaqueTypeILi8EEEEEPmjNS1_19radix_merge_compareILb0ELb1EmNS0_19identity_decomposerEEEEEvT0_T1_jPSH_T2_SH_.has_indirect_call, 0
	.section	.AMDGPU.csdata,"",@progbits
; Kernel info:
; codeLenInByte = 344
; TotalNumSgprs: 16
; NumVgprs: 16
; NumAgprs: 0
; TotalNumVgprs: 16
; ScratchSize: 0
; MemoryBound: 0
; FloatMode: 240
; IeeeMode: 1
; LDSByteSize: 0 bytes/workgroup (compile time only)
; SGPRBlocks: 1
; VGPRBlocks: 1
; NumSGPRsForWavesPerEU: 16
; NumVGPRsForWavesPerEU: 16
; AccumOffset: 16
; Occupancy: 8
; WaveLimiterHint : 0
; COMPUTE_PGM_RSRC2:SCRATCH_EN: 0
; COMPUTE_PGM_RSRC2:USER_SGPR: 2
; COMPUTE_PGM_RSRC2:TRAP_HANDLER: 0
; COMPUTE_PGM_RSRC2:TGID_X_EN: 1
; COMPUTE_PGM_RSRC2:TGID_Y_EN: 0
; COMPUTE_PGM_RSRC2:TGID_Z_EN: 0
; COMPUTE_PGM_RSRC2:TIDIG_COMP_CNT: 0
; COMPUTE_PGM_RSRC3_GFX90A:ACCUM_OFFSET: 3
; COMPUTE_PGM_RSRC3_GFX90A:TG_SPLIT: 0
	.section	.text._ZN7rocprim17ROCPRIM_304000_NS6detail35device_block_merge_mergepath_kernelINS1_37wrapped_merge_sort_block_merge_configINS0_14default_configEmN2at4cuda3cub6detail10OpaqueTypeILi8EEEEEPmSC_PSA_SD_jNS1_19radix_merge_compareILb0ELb1EmNS0_19identity_decomposerEEEEEvT0_T1_T2_T3_T4_SL_jT5_PKSL_NS1_7vsmem_tE,"axG",@progbits,_ZN7rocprim17ROCPRIM_304000_NS6detail35device_block_merge_mergepath_kernelINS1_37wrapped_merge_sort_block_merge_configINS0_14default_configEmN2at4cuda3cub6detail10OpaqueTypeILi8EEEEEPmSC_PSA_SD_jNS1_19radix_merge_compareILb0ELb1EmNS0_19identity_decomposerEEEEEvT0_T1_T2_T3_T4_SL_jT5_PKSL_NS1_7vsmem_tE,comdat
	.protected	_ZN7rocprim17ROCPRIM_304000_NS6detail35device_block_merge_mergepath_kernelINS1_37wrapped_merge_sort_block_merge_configINS0_14default_configEmN2at4cuda3cub6detail10OpaqueTypeILi8EEEEEPmSC_PSA_SD_jNS1_19radix_merge_compareILb0ELb1EmNS0_19identity_decomposerEEEEEvT0_T1_T2_T3_T4_SL_jT5_PKSL_NS1_7vsmem_tE ; -- Begin function _ZN7rocprim17ROCPRIM_304000_NS6detail35device_block_merge_mergepath_kernelINS1_37wrapped_merge_sort_block_merge_configINS0_14default_configEmN2at4cuda3cub6detail10OpaqueTypeILi8EEEEEPmSC_PSA_SD_jNS1_19radix_merge_compareILb0ELb1EmNS0_19identity_decomposerEEEEEvT0_T1_T2_T3_T4_SL_jT5_PKSL_NS1_7vsmem_tE
	.globl	_ZN7rocprim17ROCPRIM_304000_NS6detail35device_block_merge_mergepath_kernelINS1_37wrapped_merge_sort_block_merge_configINS0_14default_configEmN2at4cuda3cub6detail10OpaqueTypeILi8EEEEEPmSC_PSA_SD_jNS1_19radix_merge_compareILb0ELb1EmNS0_19identity_decomposerEEEEEvT0_T1_T2_T3_T4_SL_jT5_PKSL_NS1_7vsmem_tE
	.p2align	8
	.type	_ZN7rocprim17ROCPRIM_304000_NS6detail35device_block_merge_mergepath_kernelINS1_37wrapped_merge_sort_block_merge_configINS0_14default_configEmN2at4cuda3cub6detail10OpaqueTypeILi8EEEEEPmSC_PSA_SD_jNS1_19radix_merge_compareILb0ELb1EmNS0_19identity_decomposerEEEEEvT0_T1_T2_T3_T4_SL_jT5_PKSL_NS1_7vsmem_tE,@function
_ZN7rocprim17ROCPRIM_304000_NS6detail35device_block_merge_mergepath_kernelINS1_37wrapped_merge_sort_block_merge_configINS0_14default_configEmN2at4cuda3cub6detail10OpaqueTypeILi8EEEEEPmSC_PSA_SD_jNS1_19radix_merge_compareILb0ELb1EmNS0_19identity_decomposerEEEEEvT0_T1_T2_T3_T4_SL_jT5_PKSL_NS1_7vsmem_tE: ; @_ZN7rocprim17ROCPRIM_304000_NS6detail35device_block_merge_mergepath_kernelINS1_37wrapped_merge_sort_block_merge_configINS0_14default_configEmN2at4cuda3cub6detail10OpaqueTypeILi8EEEEEPmSC_PSA_SD_jNS1_19radix_merge_compareILb0ELb1EmNS0_19identity_decomposerEEEEEvT0_T1_T2_T3_T4_SL_jT5_PKSL_NS1_7vsmem_tE
; %bb.0:
	s_load_dwordx2 s[36:37], s[0:1], 0x48
	s_load_dwordx4 s[16:19], s[0:1], 0x20
	s_add_u32 s34, s0, 0x48
	s_addc_u32 s35, s1, 0
	s_waitcnt lgkmcnt(0)
	s_mul_i32 s4, s37, s4
	s_add_i32 s3, s4, s3
	s_mul_i32 s3, s3, s36
	s_add_i32 s6, s3, s2
	s_cmp_ge_u32 s6, s18
	s_cbranch_scc1 .LBB21_103
; %bb.1:
	s_load_dwordx8 s[8:15], s[0:1], 0x0
	s_load_dwordx4 s[20:23], s[0:1], 0x30
	s_lshr_b32 s37, s16, 10
	s_cmp_lg_u32 s6, s37
	s_mov_b32 s7, 0
	s_cselect_b64 s[24:25], -1, 0
	s_lshl_b64 s[0:1], s[6:7], 2
	s_waitcnt lgkmcnt(0)
	s_add_u32 s0, s22, s0
	s_addc_u32 s1, s23, s1
	s_load_dwordx2 s[22:23], s[0:1], 0x0
	s_lshr_b32 s0, s17, 9
	s_and_b32 s0, s0, 0x7ffffe
	s_sub_i32 s0, 0, s0
	s_and_b32 s1, s6, s0
	s_lshl_b32 s3, s1, 10
	s_lshl_b32 s18, s6, 10
	;; [unrolled: 1-line block ×3, first 2 shown]
	s_sub_i32 s4, s18, s3
	s_add_i32 s1, s1, s17
	s_add_i32 s4, s1, s4
	s_waitcnt lgkmcnt(0)
	s_sub_i32 s5, s4, s22
	s_sub_i32 s4, s4, s23
	;; [unrolled: 1-line block ×3, first 2 shown]
	s_min_u32 s26, s16, s5
	s_addk_i32 s4, 0x400
	s_or_b32 s0, s6, s0
	s_min_u32 s3, s16, s1
	s_add_i32 s1, s1, s17
	s_cmp_eq_u32 s0, -1
	s_cselect_b32 s0, s1, s4
	s_cselect_b32 s1, s3, s23
	s_min_u32 s0, s0, s16
	s_mov_b32 s23, s7
	s_sub_i32 s19, s1, s22
	s_sub_i32 s33, s0, s26
	s_lshl_b64 s[28:29], s[22:23], 3
	s_add_u32 s0, s8, s28
	s_mov_b32 s27, s7
	s_addc_u32 s1, s9, s29
	s_lshl_b64 s[30:31], s[26:27], 3
	s_add_u32 s4, s8, s30
	s_addc_u32 s5, s9, s31
	s_cmp_lt_u32 s2, s36
	v_mov_b32_e32 v19, 0
	s_cselect_b32 s2, 12, 18
	global_load_dword v1, v19, s[34:35] offset:14
	s_add_u32 s2, s34, s2
	s_addc_u32 s3, s35, 0
	global_load_ushort v2, v19, s[2:3]
	v_cmp_gt_u32_e32 vcc, s19, v0
	s_cmp_eq_u32 s6, s37
	v_lshlrev_b32_e32 v18, 3, v0
	s_waitcnt vmcnt(1)
	v_lshrrev_b32_e32 v3, 16, v1
	v_and_b32_e32 v1, 0xffff, v1
	v_mul_lo_u32 v1, v1, v3
	s_waitcnt vmcnt(0)
	v_mul_lo_u32 v1, v1, v2
	v_add_u32_e32 v20, v1, v0
	s_cbranch_scc1 .LBB21_3
; %bb.2:
	v_subrev_u32_e32 v4, s19, v0
	v_lshlrev_b32_e32 v4, 3, v4
	v_mov_b32_e32 v5, v19
	v_lshl_add_u64 v[2:3], s[0:1], 0, v[18:19]
	v_lshl_add_u64 v[4:5], s[4:5], 0, v[4:5]
	v_cndmask_b32_e32 v3, v5, v3, vcc
	v_cndmask_b32_e32 v2, v4, v2, vcc
	v_mov_b32_e32 v21, v19
	v_subrev_co_u32_e32 v6, vcc, s19, v20
	v_mov_b32_e32 v7, v19
	v_lshl_add_u64 v[4:5], v[20:21], 3, s[0:1]
	v_lshl_add_u64 v[6:7], v[6:7], 3, s[4:5]
	v_add_u32_e32 v8, v20, v1
	v_cndmask_b32_e32 v5, v7, v5, vcc
	v_cndmask_b32_e32 v4, v6, v4, vcc
	v_mov_b32_e32 v9, v19
	v_subrev_co_u32_e32 v10, vcc, s19, v8
	v_mov_b32_e32 v11, v19
	v_lshl_add_u64 v[6:7], v[8:9], 3, s[0:1]
	v_lshl_add_u64 v[10:11], v[10:11], 3, s[4:5]
	v_cndmask_b32_e32 v6, v10, v6, vcc
	v_add_u32_e32 v10, v8, v1
	v_cndmask_b32_e32 v7, v11, v7, vcc
	v_mov_b32_e32 v11, v19
	v_subrev_co_u32_e32 v12, vcc, s19, v10
	v_mov_b32_e32 v13, v19
	v_lshl_add_u64 v[8:9], v[10:11], 3, s[0:1]
	v_lshl_add_u64 v[12:13], v[12:13], 3, s[4:5]
	v_cndmask_b32_e32 v8, v12, v8, vcc
	v_add_u32_e32 v12, v10, v1
	;; [unrolled: 8-line block ×4, first 2 shown]
	v_cndmask_b32_e32 v13, v17, v13, vcc
	v_mov_b32_e32 v17, v19
	v_subrev_co_u32_e32 v22, vcc, s19, v16
	v_mov_b32_e32 v23, v19
	v_lshl_add_u64 v[14:15], v[16:17], 3, s[0:1]
	v_lshl_add_u64 v[22:23], v[22:23], 3, s[4:5]
	v_add_u32_e32 v16, v16, v1
	v_cndmask_b32_e32 v15, v23, v15, vcc
	v_cndmask_b32_e32 v14, v22, v14, vcc
	v_lshl_add_u64 v[22:23], v[16:17], 3, s[0:1]
	v_subrev_co_u32_e32 v16, vcc, s19, v16
	v_lshl_add_u64 v[16:17], v[16:17], 3, s[4:5]
	s_nop 0
	v_cndmask_b32_e32 v17, v17, v23, vcc
	v_cndmask_b32_e32 v16, v16, v22, vcc
	global_load_dwordx2 v[2:3], v[2:3], off
	s_add_i32 s17, s33, s19
	global_load_dwordx2 v[4:5], v[4:5], off
	s_nop 0
	global_load_dwordx2 v[6:7], v[6:7], off
	s_nop 0
	;; [unrolled: 2-line block ×6, first 2 shown]
	global_load_dwordx2 v[16:17], v[16:17], off
	s_cbranch_execz .LBB21_4
	s_branch .LBB21_21
.LBB21_3:
                                        ; implicit-def: $vgpr2_vgpr3_vgpr4_vgpr5_vgpr6_vgpr7_vgpr8_vgpr9_vgpr10_vgpr11_vgpr12_vgpr13_vgpr14_vgpr15_vgpr16_vgpr17
                                        ; implicit-def: $sgpr17
.LBB21_4:
	s_add_i32 s17, s33, s19
	s_waitcnt vmcnt(7)
	v_mov_b32_e32 v2, 0
	v_cmp_gt_u32_e32 vcc, s17, v0
	v_mov_b32_e32 v3, v2
	s_waitcnt vmcnt(6)
	v_mov_b32_e32 v4, v2
	v_mov_b32_e32 v5, v2
	s_waitcnt vmcnt(5)
	v_mov_b32_e32 v6, v2
	;; [unrolled: 3-line block ×7, first 2 shown]
	v_mov_b32_e32 v17, v2
	s_and_saveexec_b64 s[2:3], vcc
	s_cbranch_execz .LBB21_6
; %bb.5:
	v_subrev_u32_e32 v3, s19, v0
	v_mov_b32_e32 v19, v2
	v_lshlrev_b32_e32 v6, 3, v3
	v_mov_b32_e32 v7, v2
	v_lshl_add_u64 v[4:5], s[0:1], 0, v[18:19]
	v_lshl_add_u64 v[6:7], s[4:5], 0, v[6:7]
	v_cmp_gt_u32_e32 vcc, s19, v0
	v_mov_b32_e32 v24, v2
	v_mov_b32_e32 v25, v2
	v_cndmask_b32_e32 v5, v7, v5, vcc
	v_cndmask_b32_e32 v4, v6, v4, vcc
	global_load_dwordx2 v[22:23], v[4:5], off
	v_mov_b32_e32 v26, v2
	v_mov_b32_e32 v27, v2
	;; [unrolled: 1-line block ×12, first 2 shown]
	s_waitcnt vmcnt(0)
	v_mov_b64_e32 v[2:3], v[22:23]
	v_mov_b64_e32 v[4:5], v[24:25]
	;; [unrolled: 1-line block ×8, first 2 shown]
.LBB21_6:
	s_or_b64 exec, exec, s[2:3]
	v_cmp_gt_u32_e32 vcc, s17, v20
	s_and_saveexec_b64 s[2:3], vcc
	s_cbranch_execz .LBB21_8
; %bb.7:
	v_mov_b32_e32 v21, 0
	v_subrev_co_u32_e32 v22, vcc, s19, v20
	v_mov_b32_e32 v23, v21
	v_lshl_add_u64 v[4:5], v[20:21], 3, s[0:1]
	v_lshl_add_u64 v[22:23], v[22:23], 3, s[4:5]
	v_cndmask_b32_e32 v5, v23, v5, vcc
	v_cndmask_b32_e32 v4, v22, v4, vcc
	global_load_dwordx2 v[4:5], v[4:5], off
.LBB21_8:
	s_or_b64 exec, exec, s[2:3]
	v_add_u32_e32 v20, v20, v1
	v_cmp_gt_u32_e32 vcc, s17, v20
	s_and_saveexec_b64 s[2:3], vcc
	s_cbranch_execz .LBB21_10
; %bb.9:
	v_mov_b32_e32 v21, 0
	v_subrev_co_u32_e32 v22, vcc, s19, v20
	v_mov_b32_e32 v23, v21
	v_lshl_add_u64 v[6:7], v[20:21], 3, s[0:1]
	v_lshl_add_u64 v[22:23], v[22:23], 3, s[4:5]
	v_cndmask_b32_e32 v7, v23, v7, vcc
	v_cndmask_b32_e32 v6, v22, v6, vcc
	global_load_dwordx2 v[6:7], v[6:7], off
.LBB21_10:
	s_or_b64 exec, exec, s[2:3]
	v_add_u32_e32 v20, v20, v1
	;; [unrolled: 15-line block ×6, first 2 shown]
	v_cmp_gt_u32_e32 vcc, s17, v20
	s_and_saveexec_b64 s[2:3], vcc
	s_cbranch_execz .LBB21_20
; %bb.19:
	v_mov_b32_e32 v21, 0
	v_lshl_add_u64 v[16:17], v[20:21], 3, s[0:1]
	v_subrev_co_u32_e32 v20, vcc, s19, v20
	v_lshl_add_u64 v[20:21], v[20:21], 3, s[4:5]
	s_nop 0
	v_cndmask_b32_e32 v17, v21, v17, vcc
	v_cndmask_b32_e32 v16, v20, v16, vcc
	global_load_dwordx2 v[16:17], v[16:17], off
.LBB21_20:
	s_or_b64 exec, exec, s[2:3]
.LBB21_21:
	v_min_u32_e32 v1, s17, v18
	v_sub_u32_e64 v19, v1, s33 clamp
	v_min_u32_e32 v20, s19, v1
	v_cmp_lt_u32_e32 vcc, v19, v20
	s_waitcnt vmcnt(0)
	ds_write2st64_b64 v18, v[2:3], v[4:5] offset1:2
	ds_write2st64_b64 v18, v[6:7], v[8:9] offset0:4 offset1:6
	ds_write2st64_b64 v18, v[10:11], v[12:13] offset0:8 offset1:10
	;; [unrolled: 1-line block ×3, first 2 shown]
	s_waitcnt lgkmcnt(0)
	s_barrier
	s_and_saveexec_b64 s[0:1], vcc
	s_cbranch_execz .LBB21_25
; %bb.22:
	v_lshlrev_b32_e32 v21, 3, v1
	v_lshl_add_u32 v21, s19, 3, v21
	s_mov_b64 s[2:3], 0
.LBB21_23:                              ; =>This Inner Loop Header: Depth=1
	v_add_u32_e32 v22, v20, v19
	v_lshrrev_b32_e32 v26, 1, v22
	v_not_b32_e32 v24, v26
	v_lshlrev_b32_e32 v22, 3, v26
	v_lshl_add_u32 v24, v24, 3, v21
	ds_read_b64 v[22:23], v22
	ds_read_b64 v[24:25], v24
	v_add_u32_e32 v27, 1, v26
	s_waitcnt lgkmcnt(1)
	v_and_b32_e32 v23, s21, v23
	v_and_b32_e32 v22, s20, v22
	s_waitcnt lgkmcnt(0)
	v_and_b32_e32 v25, s21, v25
	v_and_b32_e32 v24, s20, v24
	v_cmp_gt_u64_e32 vcc, v[22:23], v[24:25]
	s_nop 1
	v_cndmask_b32_e32 v20, v20, v26, vcc
	v_cndmask_b32_e32 v19, v27, v19, vcc
	v_cmp_ge_u32_e32 vcc, v19, v20
	s_or_b64 s[2:3], vcc, s[2:3]
	s_andn2_b64 exec, exec, s[2:3]
	s_cbranch_execnz .LBB21_23
; %bb.24:
	s_or_b64 exec, exec, s[2:3]
.LBB21_25:
	s_or_b64 exec, exec, s[0:1]
	v_sub_u32_e32 v1, v1, v19
	v_add_u32_e32 v20, s19, v1
	v_cmp_ge_u32_e32 vcc, s19, v19
	v_cmp_ge_u32_e64 s[0:1], s17, v20
	s_or_b64 s[0:1], vcc, s[0:1]
	v_mov_b32_e32 v28, 0
	v_mov_b32_e32 v30, 0
	;; [unrolled: 1-line block ×8, first 2 shown]
	s_and_saveexec_b64 s[34:35], s[0:1]
	s_cbranch_execz .LBB21_31
; %bb.26:
	v_cmp_gt_u32_e32 vcc, s19, v19
                                        ; implicit-def: $vgpr2_vgpr3
	s_and_saveexec_b64 s[0:1], vcc
; %bb.27:
	v_lshlrev_b32_e32 v1, 3, v19
	ds_read_b64 v[2:3], v1
; %bb.28:
	s_or_b64 exec, exec, s[0:1]
	v_cmp_le_u32_e64 s[0:1], s17, v20
	v_cmp_gt_u32_e64 s[2:3], s17, v20
                                        ; implicit-def: $vgpr4_vgpr5
	s_and_saveexec_b64 s[4:5], s[2:3]
; %bb.29:
	v_lshlrev_b32_e32 v1, 3, v20
	ds_read_b64 v[4:5], v1
; %bb.30:
	s_or_b64 exec, exec, s[4:5]
	s_waitcnt lgkmcnt(0)
	v_and_b32_e32 v7, s21, v5
	v_and_b32_e32 v6, s20, v4
	;; [unrolled: 1-line block ×4, first 2 shown]
	v_cmp_le_u64_e64 s[2:3], v[8:9], v[6:7]
	s_and_b64 s[2:3], vcc, s[2:3]
	s_or_b64 vcc, s[0:1], s[2:3]
	v_mov_b32_e32 v16, s17
	v_mov_b32_e32 v17, s19
	v_cndmask_b32_e32 v1, v20, v19, vcc
	v_cndmask_b32_e32 v6, v16, v17, vcc
	v_add_u32_e32 v8, 1, v1
	v_add_u32_e32 v6, -1, v6
	v_min_u32_e32 v6, v8, v6
	v_lshlrev_b32_e32 v6, 3, v6
	ds_read_b64 v[6:7], v6
	v_cndmask_b32_e32 v14, v8, v20, vcc
	v_cndmask_b32_e32 v15, v19, v8, vcc
	v_cmp_gt_u32_e64 s[2:3], s19, v15
	v_cmp_le_u32_e64 s[0:1], s17, v14
	s_waitcnt lgkmcnt(0)
	v_cndmask_b32_e32 v10, v7, v5, vcc
	v_cndmask_b32_e32 v11, v6, v4, vcc
	;; [unrolled: 1-line block ×4, first 2 shown]
	v_and_b32_e32 v7, s21, v10
	v_and_b32_e32 v6, s20, v11
	;; [unrolled: 1-line block ×4, first 2 shown]
	v_cmp_le_u64_e64 s[4:5], v[8:9], v[6:7]
	s_and_b64 s[2:3], s[2:3], s[4:5]
	s_or_b64 s[0:1], s[0:1], s[2:3]
	v_cndmask_b32_e64 v24, v14, v15, s[0:1]
	v_cndmask_b32_e64 v6, v16, v17, s[0:1]
	v_add_u32_e32 v8, 1, v24
	v_add_u32_e32 v6, -1, v6
	v_min_u32_e32 v6, v8, v6
	v_lshlrev_b32_e32 v6, 3, v6
	ds_read_b64 v[6:7], v6
	v_cndmask_b32_e64 v14, v8, v14, s[0:1]
	v_cndmask_b32_e64 v15, v15, v8, s[0:1]
	v_cmp_gt_u32_e64 s[4:5], s19, v15
	v_cmp_le_u32_e64 s[2:3], s17, v14
	s_waitcnt lgkmcnt(0)
	v_cndmask_b32_e64 v19, v7, v10, s[0:1]
	v_cndmask_b32_e64 v20, v6, v11, s[0:1]
	;; [unrolled: 1-line block ×4, first 2 shown]
	v_and_b32_e32 v7, s21, v19
	v_and_b32_e32 v6, s20, v20
	;; [unrolled: 1-line block ×4, first 2 shown]
	v_cmp_le_u64_e64 s[6:7], v[8:9], v[6:7]
	s_and_b64 s[4:5], s[4:5], s[6:7]
	s_or_b64 s[2:3], s[2:3], s[4:5]
	v_cndmask_b32_e64 v25, v14, v15, s[2:3]
	v_cndmask_b32_e64 v6, v16, v17, s[2:3]
	v_add_u32_e32 v8, 1, v25
	v_add_u32_e32 v6, -1, v6
	v_min_u32_e32 v6, v8, v6
	v_lshlrev_b32_e32 v6, 3, v6
	ds_read_b64 v[6:7], v6
	v_cndmask_b32_e64 v14, v8, v14, s[2:3]
	v_cndmask_b32_e64 v15, v15, v8, s[2:3]
	v_cmp_gt_u32_e64 s[6:7], s19, v15
	v_cmp_le_u32_e64 s[4:5], s17, v14
	s_waitcnt lgkmcnt(0)
	v_cndmask_b32_e64 v23, v7, v19, s[2:3]
	v_cndmask_b32_e64 v28, v6, v20, s[2:3]
	;; [unrolled: 1-line block ×4, first 2 shown]
	v_and_b32_e32 v7, s21, v23
	v_and_b32_e32 v6, s20, v28
	;; [unrolled: 1-line block ×4, first 2 shown]
	v_cmp_le_u64_e64 s[8:9], v[8:9], v[6:7]
	s_and_b64 s[6:7], s[6:7], s[8:9]
	s_or_b64 s[4:5], s[4:5], s[6:7]
	v_cndmask_b32_e64 v26, v14, v15, s[4:5]
	v_cndmask_b32_e64 v6, v16, v17, s[4:5]
	v_add_u32_e32 v8, 1, v26
	v_add_u32_e32 v6, -1, v6
	v_min_u32_e32 v6, v8, v6
	v_lshlrev_b32_e32 v6, 3, v6
	ds_read_b64 v[6:7], v6
	v_cndmask_b32_e32 v3, v5, v3, vcc
	v_cndmask_b32_e32 v2, v4, v2, vcc
	v_cndmask_b32_e64 v15, v15, v8, s[4:5]
	v_cndmask_b32_e64 v14, v8, v14, s[4:5]
	s_waitcnt lgkmcnt(0)
	v_cndmask_b32_e64 v32, v7, v23, s[4:5]
	v_cndmask_b32_e64 v33, v6, v28, s[4:5]
	;; [unrolled: 1-line block ×4, first 2 shown]
	v_and_b32_e32 v5, s21, v32
	v_and_b32_e32 v4, s20, v33
	;; [unrolled: 1-line block ×4, first 2 shown]
	v_cmp_gt_u32_e64 s[6:7], s19, v15
	v_cmp_le_u64_e64 s[8:9], v[6:7], v[4:5]
	v_cmp_le_u32_e32 vcc, s17, v14
	s_and_b64 s[6:7], s[6:7], s[8:9]
	s_or_b64 vcc, vcc, s[6:7]
	v_cndmask_b32_e32 v27, v14, v15, vcc
	v_cndmask_b32_e32 v4, v16, v17, vcc
	v_add_u32_e32 v29, 1, v27
	v_add_u32_e32 v4, -1, v4
	v_min_u32_e32 v4, v29, v4
	v_lshlrev_b32_e32 v4, 3, v4
	ds_read_b64 v[8:9], v4
	v_cndmask_b32_e64 v7, v19, v21, s[2:3]
	v_cndmask_b32_e64 v6, v20, v22, s[2:3]
	;; [unrolled: 1-line block ×4, first 2 shown]
	s_waitcnt lgkmcnt(0)
	v_cndmask_b32_e32 v19, v9, v32, vcc
	v_cndmask_b32_e32 v20, v8, v33, vcc
	;; [unrolled: 1-line block ×5, first 2 shown]
	v_and_b32_e32 v9, s21, v19
	v_and_b32_e32 v8, s20, v20
	;; [unrolled: 1-line block ×4, first 2 shown]
	v_cndmask_b32_e32 v14, v29, v14, vcc
	v_cmp_gt_u32_e64 s[2:3], s19, v15
	v_cmp_le_u64_e64 s[6:7], v[10:11], v[8:9]
	v_cmp_le_u32_e64 s[0:1], s17, v14
	s_and_b64 s[2:3], s[2:3], s[6:7]
	s_or_b64 s[0:1], s[0:1], s[2:3]
	v_cndmask_b32_e64 v29, v14, v15, s[0:1]
	v_cndmask_b32_e64 v8, v16, v17, s[0:1]
	v_add_u32_e32 v36, 1, v29
	v_add_u32_e32 v8, -1, v8
	v_min_u32_e32 v8, v36, v8
	v_lshlrev_b32_e32 v8, 3, v8
	ds_read_b64 v[12:13], v8
	v_cndmask_b32_e64 v9, v23, v30, s[4:5]
	v_cndmask_b32_e64 v8, v28, v31, s[4:5]
	v_cndmask_b32_e32 v11, v32, v34, vcc
	v_cndmask_b32_e32 v10, v33, v35, vcc
	s_waitcnt lgkmcnt(0)
	v_cndmask_b32_e64 v23, v13, v19, s[0:1]
	v_cndmask_b32_e64 v28, v12, v20, s[0:1]
	;; [unrolled: 1-line block ×6, first 2 shown]
	v_and_b32_e32 v13, s21, v23
	v_and_b32_e32 v12, s20, v28
	;; [unrolled: 1-line block ×4, first 2 shown]
	v_cmp_gt_u32_e64 s[2:3], s19, v34
	v_cmp_le_u64_e64 s[4:5], v[14:15], v[12:13]
	v_cmp_le_u32_e32 vcc, s17, v33
	s_and_b64 s[2:3], s[2:3], s[4:5]
	s_or_b64 vcc, vcc, s[2:3]
	v_cndmask_b32_e32 v30, v33, v34, vcc
	v_cndmask_b32_e32 v12, v16, v17, vcc
	v_add_u32_e32 v35, 1, v30
	v_add_u32_e32 v12, -1, v12
	v_min_u32_e32 v12, v35, v12
	v_lshlrev_b32_e32 v12, 3, v12
	ds_read_b64 v[16:17], v12
	v_cndmask_b32_e64 v13, v19, v21, s[0:1]
	v_cndmask_b32_e64 v12, v20, v22, s[0:1]
	v_cndmask_b32_e32 v15, v23, v31, vcc
	v_cndmask_b32_e32 v14, v28, v32, vcc
	s_waitcnt lgkmcnt(0)
	v_cndmask_b32_e32 v19, v17, v23, vcc
	v_cndmask_b32_e32 v22, v16, v28, vcc
	;; [unrolled: 1-line block ×5, first 2 shown]
	v_and_b32_e32 v17, s21, v19
	v_and_b32_e32 v16, s20, v22
	;; [unrolled: 1-line block ×4, first 2 shown]
	v_cndmask_b32_e32 v28, v35, v33, vcc
	v_cmp_gt_u32_e64 s[0:1], s19, v32
	v_cmp_le_u64_e64 s[2:3], v[20:21], v[16:17]
	v_cmp_le_u32_e32 vcc, s17, v28
	s_and_b64 s[0:1], s[0:1], s[2:3]
	s_or_b64 vcc, vcc, s[0:1]
	v_cndmask_b32_e32 v28, v28, v32, vcc
	v_cndmask_b32_e32 v17, v19, v23, vcc
	;; [unrolled: 1-line block ×3, first 2 shown]
.LBB21_31:
	s_or_b64 exec, exec, s[34:35]
	s_add_u32 s8, s12, s28
	s_addc_u32 s9, s13, s29
	s_add_u32 s6, s12, s30
	v_cndmask_b32_e64 v19, 0, 1, s[24:25]
	v_mov_b32_e32 v21, 0
	s_addc_u32 s7, s13, s31
	v_cmp_gt_u32_e64 s[4:5], s19, v0
	v_cmp_ne_u32_e64 s[0:1], 1, v19
	s_andn2_b64 vcc, exec, s[24:25]
	v_cmp_le_u32_e64 s[2:3], s19, v0
	s_barrier
	s_cbranch_vccnz .LBB21_33
; %bb.32:
	v_subrev_u32_e32 v19, s19, v0
	v_lshlrev_b32_e32 v20, 3, v19
	v_mov_b32_e32 v19, v21
	v_lshl_add_u64 v[32:33], s[8:9], 0, v[18:19]
	v_or_b32_e32 v19, 0x80, v0
	v_lshl_add_u64 v[22:23], s[6:7], 0, v[20:21]
	v_subrev_u32_e32 v20, s19, v19
	v_cndmask_b32_e64 v23, v23, v33, s[4:5]
	v_cndmask_b32_e64 v22, v22, v32, s[4:5]
	v_min_u32_e32 v20, v19, v20
	v_mov_b32_e32 v31, s7
	v_mov_b32_e32 v46, s9
	v_cmp_gt_u32_e32 vcc, s19, v19
	v_mov_b32_e32 v47, s6
	v_mov_b32_e32 v48, s8
	global_load_dwordx2 v[32:33], v[22:23], off
	v_cndmask_b32_e32 v23, v31, v46, vcc
	v_cndmask_b32_e32 v22, v47, v48, vcc
	v_lshlrev_b32_e32 v20, 3, v20
	v_or_b32_e32 v19, 0x100, v0
	v_lshl_add_u64 v[22:23], v[22:23], 0, v[20:21]
	v_subrev_u32_e32 v20, s19, v19
	v_min_u32_e32 v20, v19, v20
	v_cmp_gt_u32_e32 vcc, s19, v19
	global_load_dwordx2 v[34:35], v[22:23], off
	v_lshlrev_b32_e32 v20, 3, v20
	v_cndmask_b32_e32 v23, v31, v46, vcc
	v_cndmask_b32_e32 v22, v47, v48, vcc
	v_or_b32_e32 v19, 0x180, v0
	v_lshl_add_u64 v[22:23], v[22:23], 0, v[20:21]
	v_subrev_u32_e32 v20, s19, v19
	v_min_u32_e32 v20, v19, v20
	v_cmp_gt_u32_e32 vcc, s19, v19
	global_load_dwordx2 v[36:37], v[22:23], off
	v_lshlrev_b32_e32 v20, 3, v20
	v_cndmask_b32_e32 v23, v31, v46, vcc
	v_cndmask_b32_e32 v22, v47, v48, vcc
	;; [unrolled: 9-line block ×5, first 2 shown]
	v_lshl_add_u64 v[20:21], v[22:23], 0, v[20:21]
	global_load_dwordx2 v[44:45], v[20:21], off
	v_or_b32_e32 v19, 0x380, v0
	v_subrev_u32_e32 v20, s19, v19
	v_cmp_gt_u32_e32 vcc, s19, v19
	v_min_u32_e32 v22, v19, v20
	s_nop 0
	v_cndmask_b32_e32 v21, v31, v46, vcc
	v_cndmask_b32_e32 v20, v47, v48, vcc
	s_mov_b64 s[4:5], -1
	s_waitcnt vmcnt(5)
	ds_write2st64_b64 v18, v[32:33], v[34:35] offset1:2
	s_waitcnt vmcnt(3)
	ds_write2st64_b64 v18, v[36:37], v[38:39] offset0:4 offset1:6
	s_waitcnt vmcnt(1)
	ds_write2st64_b64 v18, v[40:41], v[42:43] offset0:8 offset1:10
	s_waitcnt vmcnt(0)
	ds_write_b64 v18, v[44:45] offset:6144
	s_cbranch_execz .LBB21_34
	s_branch .LBB21_65
.LBB21_33:
	s_mov_b64 s[4:5], 0
                                        ; implicit-def: $vgpr19
                                        ; implicit-def: $vgpr20_vgpr21
                                        ; implicit-def: $vgpr22
.LBB21_34:
	s_mov_b64 s[4:5], 0
                                        ; implicit-def: $vgpr20_vgpr21
	s_and_saveexec_b64 s[20:21], s[2:3]
	s_xor_b64 s[2:3], exec, s[20:21]
	s_cbranch_execnz .LBB21_104
; %bb.35:
	s_andn2_saveexec_b64 s[2:3], s[2:3]
	s_cbranch_execnz .LBB21_107
.LBB21_36:
	s_or_b64 exec, exec, s[2:3]
	s_and_saveexec_b64 s[2:3], s[4:5]
	s_cbranch_execz .LBB21_38
.LBB21_37:
	global_load_dwordx2 v[20:21], v[20:21], off
	s_waitcnt vmcnt(0)
	ds_write_b64 v18, v[20:21]
.LBB21_38:
	s_or_b64 exec, exec, s[2:3]
	v_or_b32_e32 v19, 0x80, v0
	v_cmp_le_u32_e32 vcc, s19, v19
	s_mov_b64 s[2:3], -1
	v_mov_b64_e32 v[20:21], s[22:23]
	s_and_saveexec_b64 s[4:5], vcc
; %bb.39:
	v_subrev_u32_e32 v19, s19, v19
	v_cmp_gt_u32_e32 vcc, s33, v19
	v_mov_b64_e32 v[20:21], s[26:27]
	s_orn2_b64 s[2:3], vcc, exec
; %bb.40:
	s_or_b64 exec, exec, s[4:5]
	s_and_saveexec_b64 s[4:5], s[2:3]
	s_cbranch_execz .LBB21_42
; %bb.41:
	v_lshl_add_u64 v[20:21], v[20:21], 3, s[12:13]
	v_lshlrev_b32_e32 v22, 3, v19
	v_mov_b32_e32 v23, 0
	v_lshl_add_u64 v[20:21], v[20:21], 0, v[22:23]
	global_load_dwordx2 v[20:21], v[20:21], off
	s_waitcnt vmcnt(0)
	ds_write_b64 v18, v[20:21] offset:1024
.LBB21_42:
	s_or_b64 exec, exec, s[4:5]
	v_or_b32_e32 v19, 0x100, v0
	v_cmp_le_u32_e32 vcc, s19, v19
	s_mov_b64 s[2:3], -1
	v_mov_b64_e32 v[20:21], s[22:23]
	s_and_saveexec_b64 s[4:5], vcc
; %bb.43:
	v_subrev_u32_e32 v19, s19, v19
	v_cmp_gt_u32_e32 vcc, s33, v19
	v_mov_b64_e32 v[20:21], s[26:27]
	s_orn2_b64 s[2:3], vcc, exec
; %bb.44:
	s_or_b64 exec, exec, s[4:5]
	s_and_saveexec_b64 s[4:5], s[2:3]
	s_cbranch_execz .LBB21_46
; %bb.45:
	v_lshl_add_u64 v[20:21], v[20:21], 3, s[12:13]
	v_lshlrev_b32_e32 v22, 3, v19
	v_mov_b32_e32 v23, 0
	v_lshl_add_u64 v[20:21], v[20:21], 0, v[22:23]
	global_load_dwordx2 v[20:21], v[20:21], off
	s_waitcnt vmcnt(0)
	ds_write_b64 v18, v[20:21] offset:2048
.LBB21_46:
	s_or_b64 exec, exec, s[4:5]
	v_or_b32_e32 v19, 0x180, v0
	v_cmp_le_u32_e32 vcc, s19, v19
	s_mov_b64 s[2:3], -1
	v_mov_b64_e32 v[20:21], s[22:23]
	s_and_saveexec_b64 s[4:5], vcc
; %bb.47:
	v_subrev_u32_e32 v19, s19, v19
	v_cmp_gt_u32_e32 vcc, s33, v19
	v_mov_b64_e32 v[20:21], s[26:27]
	s_orn2_b64 s[2:3], vcc, exec
; %bb.48:
	s_or_b64 exec, exec, s[4:5]
	s_and_saveexec_b64 s[4:5], s[2:3]
	s_cbranch_execz .LBB21_50
; %bb.49:
	v_lshl_add_u64 v[20:21], v[20:21], 3, s[12:13]
	v_lshlrev_b32_e32 v22, 3, v19
	v_mov_b32_e32 v23, 0
	v_lshl_add_u64 v[20:21], v[20:21], 0, v[22:23]
	global_load_dwordx2 v[20:21], v[20:21], off
	s_waitcnt vmcnt(0)
	ds_write_b64 v18, v[20:21] offset:3072
.LBB21_50:
	s_or_b64 exec, exec, s[4:5]
	v_or_b32_e32 v19, 0x200, v0
	v_cmp_le_u32_e32 vcc, s19, v19
	s_mov_b64 s[2:3], -1
	v_mov_b64_e32 v[20:21], s[22:23]
	s_and_saveexec_b64 s[4:5], vcc
; %bb.51:
	v_subrev_u32_e32 v19, s19, v19
	v_cmp_gt_u32_e32 vcc, s33, v19
	v_mov_b64_e32 v[20:21], s[26:27]
	s_orn2_b64 s[2:3], vcc, exec
; %bb.52:
	s_or_b64 exec, exec, s[4:5]
	s_and_saveexec_b64 s[4:5], s[2:3]
	s_cbranch_execz .LBB21_54
; %bb.53:
	v_lshl_add_u64 v[20:21], v[20:21], 3, s[12:13]
	v_lshlrev_b32_e32 v22, 3, v19
	v_mov_b32_e32 v23, 0
	v_lshl_add_u64 v[20:21], v[20:21], 0, v[22:23]
	global_load_dwordx2 v[20:21], v[20:21], off
	s_waitcnt vmcnt(0)
	ds_write_b64 v18, v[20:21] offset:4096
.LBB21_54:
	s_or_b64 exec, exec, s[4:5]
	v_or_b32_e32 v19, 0x280, v0
	v_cmp_le_u32_e32 vcc, s19, v19
	s_mov_b64 s[2:3], -1
	v_mov_b64_e32 v[20:21], s[22:23]
	s_and_saveexec_b64 s[4:5], vcc
; %bb.55:
	v_subrev_u32_e32 v19, s19, v19
	v_cmp_gt_u32_e32 vcc, s33, v19
	v_mov_b64_e32 v[20:21], s[26:27]
	s_orn2_b64 s[2:3], vcc, exec
; %bb.56:
	s_or_b64 exec, exec, s[4:5]
	s_and_saveexec_b64 s[4:5], s[2:3]
	s_cbranch_execz .LBB21_58
; %bb.57:
	v_lshl_add_u64 v[20:21], v[20:21], 3, s[12:13]
	v_lshlrev_b32_e32 v22, 3, v19
	v_mov_b32_e32 v23, 0
	v_lshl_add_u64 v[20:21], v[20:21], 0, v[22:23]
	global_load_dwordx2 v[20:21], v[20:21], off
	s_waitcnt vmcnt(0)
	ds_write_b64 v18, v[20:21] offset:5120
.LBB21_58:
	s_or_b64 exec, exec, s[4:5]
	v_or_b32_e32 v19, 0x300, v0
	v_cmp_le_u32_e32 vcc, s19, v19
	s_mov_b64 s[2:3], -1
	v_mov_b64_e32 v[20:21], s[22:23]
	s_and_saveexec_b64 s[4:5], vcc
; %bb.59:
	v_subrev_u32_e32 v19, s19, v19
	v_cmp_gt_u32_e32 vcc, s33, v19
	v_mov_b64_e32 v[20:21], s[26:27]
	s_orn2_b64 s[2:3], vcc, exec
; %bb.60:
	s_or_b64 exec, exec, s[4:5]
	s_and_saveexec_b64 s[4:5], s[2:3]
	s_cbranch_execz .LBB21_62
; %bb.61:
	v_lshl_add_u64 v[20:21], v[20:21], 3, s[12:13]
	v_lshlrev_b32_e32 v22, 3, v19
	v_mov_b32_e32 v23, 0
	v_lshl_add_u64 v[20:21], v[20:21], 0, v[22:23]
	global_load_dwordx2 v[20:21], v[20:21], off
	s_waitcnt vmcnt(0)
	ds_write_b64 v18, v[20:21] offset:6144
.LBB21_62:
	s_or_b64 exec, exec, s[4:5]
	v_or_b32_e32 v19, 0x380, v0
	v_cmp_le_u32_e32 vcc, s19, v19
	s_mov_b64 s[4:5], -1
	v_mov_b64_e32 v[20:21], s[8:9]
	v_mov_b32_e32 v22, v19
	s_and_saveexec_b64 s[2:3], vcc
; %bb.63:
	v_subrev_u32_e32 v22, s19, v19
	v_cmp_gt_u32_e32 vcc, s33, v22
	v_mov_b64_e32 v[20:21], s[6:7]
	s_orn2_b64 s[4:5], vcc, exec
; %bb.64:
	s_or_b64 exec, exec, s[2:3]
.LBB21_65:
	s_and_saveexec_b64 s[2:3], s[4:5]
	s_cbranch_execz .LBB21_67
; %bb.66:
	v_mov_b32_e32 v23, 0
	v_lshl_add_u64 v[20:21], v[22:23], 3, v[20:21]
	global_load_dwordx2 v[20:21], v[20:21], off
	v_lshlrev_b32_e32 v19, 3, v19
	s_waitcnt vmcnt(0)
	ds_write_b64 v19, v[20:21]
.LBB21_67:
	s_or_b64 exec, exec, s[2:3]
	s_and_b64 vcc, exec, s[0:1]
	v_add_u32_e32 v20, s18, v18
	s_waitcnt lgkmcnt(0)
	s_barrier
	s_cbranch_vccnz .LBB21_69
; %bb.68:
	v_lshlrev_b32_e32 v19, 3, v1
	v_lshlrev_b32_e32 v22, 3, v24
	v_lshlrev_b32_e32 v23, 3, v25
	v_lshlrev_b32_e32 v31, 3, v26
	ds_read_b64 v[34:35], v19
	ds_read_b64 v[36:37], v22
	;; [unrolled: 1-line block ×4, first 2 shown]
	v_lshlrev_b32_e32 v19, 3, v27
	v_lshlrev_b32_e32 v22, 3, v29
	;; [unrolled: 1-line block ×3, first 2 shown]
	ds_read_b64 v[42:43], v19
	ds_read_b64 v[44:45], v22
	ds_read_b64 v[22:23], v23
	v_mov_b32_e32 v21, 0
	v_lshl_add_u64 v[32:33], v[20:21], 3, s[14:15]
	s_mov_b64 s[0:1], -1
	s_waitcnt lgkmcnt(5)
	global_store_dwordx4 v[32:33], v[34:37], off
	s_waitcnt lgkmcnt(3)
	global_store_dwordx4 v[32:33], v[38:41], off offset:16
	s_waitcnt lgkmcnt(1)
	global_store_dwordx4 v[32:33], v[42:45], off offset:32
	s_waitcnt lgkmcnt(0)
	global_store_dwordx2 v[32:33], v[22:23], off offset:48
	s_cbranch_execz .LBB21_70
	s_branch .LBB21_87
.LBB21_69:
	s_mov_b64 s[0:1], 0
.LBB21_70:
	v_cmp_gt_u32_e32 vcc, s17, v18
	s_and_saveexec_b64 s[2:3], vcc
	s_cbranch_execz .LBB21_72
; %bb.71:
	v_lshlrev_b32_e32 v1, 3, v1
	ds_read_b64 v[22:23], v1
	v_mov_b32_e32 v21, 0
	v_lshl_add_u64 v[32:33], v[20:21], 3, s[14:15]
	s_waitcnt lgkmcnt(0)
	global_store_dwordx2 v[32:33], v[22:23], off
.LBB21_72:
	s_or_b64 exec, exec, s[2:3]
	v_or_b32_e32 v1, 1, v18
	v_cmp_gt_u32_e32 vcc, s17, v1
	s_and_saveexec_b64 s[2:3], vcc
	s_cbranch_execz .LBB21_74
; %bb.73:
	v_lshlrev_b32_e32 v1, 3, v24
	ds_read_b64 v[22:23], v1
	v_mov_b32_e32 v21, 0
	v_lshl_add_u64 v[32:33], v[20:21], 3, s[14:15]
	s_waitcnt lgkmcnt(0)
	global_store_dwordx2 v[32:33], v[22:23], off offset:8
.LBB21_74:
	s_or_b64 exec, exec, s[2:3]
	v_or_b32_e32 v1, 2, v18
	v_cmp_gt_u32_e32 vcc, s17, v1
	s_and_saveexec_b64 s[2:3], vcc
	s_cbranch_execz .LBB21_76
; %bb.75:
	v_lshlrev_b32_e32 v1, 3, v25
	ds_read_b64 v[22:23], v1
	v_mov_b32_e32 v21, 0
	v_lshl_add_u64 v[24:25], v[20:21], 3, s[14:15]
	s_waitcnt lgkmcnt(0)
	global_store_dwordx2 v[24:25], v[22:23], off offset:16
.LBB21_76:
	;; [unrolled: 13-line block ×6, first 2 shown]
	s_or_b64 exec, exec, s[2:3]
	v_or_b32_e32 v1, 7, v18
	v_cmp_gt_u32_e32 vcc, s17, v1
	s_and_saveexec_b64 s[2:3], vcc
; %bb.85:
	v_mov_b32_e32 v21, 0
	s_or_b64 s[0:1], s[0:1], exec
; %bb.86:
	s_or_b64 exec, exec, s[2:3]
.LBB21_87:
	s_and_saveexec_b64 s[2:3], s[0:1]
	s_cbranch_execz .LBB21_89
; %bb.88:
	v_lshlrev_b32_e32 v1, 3, v28
	ds_read_b64 v[22:23], v1
	v_lshl_add_u64 v[20:21], v[20:21], 3, s[14:15]
	s_waitcnt lgkmcnt(0)
	global_store_dwordx2 v[20:21], v[22:23], off offset:56
.LBB21_89:
	s_or_b64 exec, exec, s[2:3]
	v_lshrrev_b32_e32 v1, 2, v0
	v_lshlrev_b32_e32 v19, 3, v18
	v_lshl_add_u32 v19, v1, 3, v19
	v_and_b32_e32 v1, 24, v1
	v_or_b32_e32 v23, 0x80, v0
	v_add_u32_e32 v24, v1, v18
	v_lshrrev_b32_e32 v1, 2, v23
	v_and_b32_e32 v1, 56, v1
	v_or_b32_e32 v22, 0x100, v0
	s_barrier
	s_barrier
	ds_write2_b64 v19, v[2:3], v[4:5] offset1:1
	ds_write2_b64 v19, v[6:7], v[8:9] offset0:2 offset1:3
	ds_write2_b64 v19, v[10:11], v[12:13] offset0:4 offset1:5
	;; [unrolled: 1-line block ×3, first 2 shown]
	v_add_u32_e32 v4, v1, v18
	v_lshrrev_b32_e32 v1, 2, v22
	v_and_b32_e32 v1, 0x58, v1
	v_or_b32_e32 v21, 0x180, v0
	v_add_u32_e32 v5, v1, v18
	v_lshrrev_b32_e32 v1, 2, v21
	v_and_b32_e32 v1, 0x78, v1
	v_or_b32_e32 v20, 0x200, v0
	;; [unrolled: 4-line block ×4, first 2 shown]
	v_add_u32_e32 v25, v1, v18
	v_lshrrev_b32_e32 v1, 2, v16
	s_mov_b32 s19, 0
	v_and_b32_e32 v1, 0xd8, v1
	s_lshl_b64 s[0:1], s[18:19], 3
	v_add_u32_e32 v26, v1, v18
	v_or_b32_e32 v1, 0x380, v0
	s_add_u32 s0, s10, s0
	v_lshrrev_b32_e32 v2, 2, v1
	s_addc_u32 s1, s11, s1
	v_and_b32_e32 v2, 0xf8, v2
	v_mov_b32_e32 v19, 0
	v_add_u32_e32 v27, v2, v18
	v_lshl_add_u64 v[2:3], s[0:1], 0, v[18:19]
	s_and_b64 vcc, exec, s[24:25]
	s_waitcnt lgkmcnt(0)
	s_cbranch_vccz .LBB21_91
; %bb.90:
	s_barrier
	ds_read_b64 v[8:9], v24
	ds_read_b64 v[10:11], v4 offset:1024
	ds_read_b64 v[12:13], v5 offset:2048
	;; [unrolled: 1-line block ×7, first 2 shown]
	s_waitcnt lgkmcnt(7)
	global_store_dwordx2 v[2:3], v[8:9], off
	s_waitcnt lgkmcnt(6)
	global_store_dwordx2 v[2:3], v[10:11], off offset:1024
	s_waitcnt lgkmcnt(5)
	global_store_dwordx2 v[2:3], v[12:13], off offset:2048
	;; [unrolled: 2-line block ×3, first 2 shown]
	v_add_co_u32_e32 v8, vcc, 0x1000, v2
	s_nop 1
	v_addc_co_u32_e32 v9, vcc, 0, v3, vcc
	s_waitcnt lgkmcnt(3)
	global_store_dwordx2 v[8:9], v[28:29], off
	s_waitcnt lgkmcnt(2)
	global_store_dwordx2 v[8:9], v[30:31], off offset:1024
	s_waitcnt lgkmcnt(1)
	global_store_dwordx2 v[8:9], v[32:33], off offset:2048
	s_mov_b64 s[0:1], -1
	s_cbranch_execz .LBB21_92
	s_branch .LBB21_101
.LBB21_91:
	s_mov_b64 s[0:1], 0
                                        ; implicit-def: $vgpr18_vgpr19
.LBB21_92:
	s_barrier
	s_waitcnt lgkmcnt(0)
	ds_read_b64 v[14:15], v4 offset:1024
	ds_read_b64 v[12:13], v5 offset:2048
	;; [unrolled: 1-line block ×7, first 2 shown]
	s_sub_i32 s2, s16, s18
	v_cmp_gt_u32_e32 vcc, s2, v0
	s_and_saveexec_b64 s[0:1], vcc
	s_cbranch_execnz .LBB21_108
; %bb.93:
	s_or_b64 exec, exec, s[0:1]
	v_cmp_gt_u32_e32 vcc, s2, v23
	s_and_saveexec_b64 s[0:1], vcc
	s_cbranch_execnz .LBB21_109
.LBB21_94:
	s_or_b64 exec, exec, s[0:1]
	v_cmp_gt_u32_e32 vcc, s2, v22
	s_and_saveexec_b64 s[0:1], vcc
	s_cbranch_execnz .LBB21_110
.LBB21_95:
	s_or_b64 exec, exec, s[0:1]
	v_cmp_gt_u32_e32 vcc, s2, v21
	s_and_saveexec_b64 s[0:1], vcc
	s_cbranch_execnz .LBB21_111
.LBB21_96:
	s_or_b64 exec, exec, s[0:1]
	v_cmp_gt_u32_e32 vcc, s2, v20
	s_and_saveexec_b64 s[0:1], vcc
	s_cbranch_execnz .LBB21_112
.LBB21_97:
	s_or_b64 exec, exec, s[0:1]
	v_cmp_gt_u32_e32 vcc, s2, v17
	s_and_saveexec_b64 s[0:1], vcc
	s_cbranch_execnz .LBB21_113
.LBB21_98:
	s_or_b64 exec, exec, s[0:1]
	v_cmp_gt_u32_e32 vcc, s2, v16
	s_and_saveexec_b64 s[0:1], vcc
	s_cbranch_execz .LBB21_100
.LBB21_99:
	s_waitcnt lgkmcnt(2)
	v_add_co_u32_e32 v6, vcc, 0x1000, v2
	s_nop 1
	v_addc_co_u32_e32 v7, vcc, 0, v3, vcc
	s_waitcnt lgkmcnt(1)
	global_store_dwordx2 v[6:7], v[4:5], off offset:2048
.LBB21_100:
	s_or_b64 exec, exec, s[0:1]
	v_cmp_gt_u32_e64 s[0:1], s2, v1
.LBB21_101:
	s_and_saveexec_b64 s[2:3], s[0:1]
	s_cbranch_execz .LBB21_103
; %bb.102:
	v_add_co_u32_e32 v0, vcc, 0x1000, v2
	s_nop 1
	v_addc_co_u32_e32 v1, vcc, 0, v3, vcc
	s_waitcnt lgkmcnt(0)
	global_store_dwordx2 v[0:1], v[18:19], off offset:3072
.LBB21_103:
	s_endpgm
.LBB21_104:
	v_subrev_u32_e32 v19, s19, v0
	v_cmp_gt_u32_e32 vcc, s33, v19
                                        ; implicit-def: $vgpr20_vgpr21
	s_and_saveexec_b64 s[20:21], vcc
	s_xor_b64 s[20:21], exec, s[20:21]
; %bb.105:
	v_lshlrev_b32_e32 v20, 3, v19
	v_mov_b32_e32 v21, 0
	s_mov_b64 s[4:5], exec
	v_lshl_add_u64 v[20:21], s[6:7], 0, v[20:21]
; %bb.106:
	s_or_b64 exec, exec, s[20:21]
	s_and_b64 s[4:5], s[4:5], exec
	s_andn2_saveexec_b64 s[2:3], s[2:3]
	s_cbranch_execz .LBB21_36
.LBB21_107:
	v_mov_b32_e32 v19, 0
	v_lshl_add_u64 v[20:21], s[8:9], 0, v[18:19]
	s_or_b64 s[4:5], s[4:5], exec
	s_or_b64 exec, exec, s[2:3]
	s_and_saveexec_b64 s[2:3], s[4:5]
	s_cbranch_execnz .LBB21_37
	s_branch .LBB21_38
.LBB21_108:
	ds_read_b64 v[24:25], v24
	s_waitcnt lgkmcnt(0)
	global_store_dwordx2 v[2:3], v[24:25], off
	s_or_b64 exec, exec, s[0:1]
	v_cmp_gt_u32_e32 vcc, s2, v23
	s_and_saveexec_b64 s[0:1], vcc
	s_cbranch_execz .LBB21_94
.LBB21_109:
	s_waitcnt lgkmcnt(6)
	global_store_dwordx2 v[2:3], v[14:15], off offset:1024
	s_or_b64 exec, exec, s[0:1]
	v_cmp_gt_u32_e32 vcc, s2, v22
	s_and_saveexec_b64 s[0:1], vcc
	s_cbranch_execz .LBB21_95
.LBB21_110:
	s_waitcnt lgkmcnt(5)
	global_store_dwordx2 v[2:3], v[12:13], off offset:2048
	s_or_b64 exec, exec, s[0:1]
	v_cmp_gt_u32_e32 vcc, s2, v21
	s_and_saveexec_b64 s[0:1], vcc
	s_cbranch_execz .LBB21_96
.LBB21_111:
	s_waitcnt lgkmcnt(4)
	global_store_dwordx2 v[2:3], v[10:11], off offset:3072
	s_or_b64 exec, exec, s[0:1]
	v_cmp_gt_u32_e32 vcc, s2, v20
	s_and_saveexec_b64 s[0:1], vcc
	s_cbranch_execz .LBB21_97
.LBB21_112:
	s_waitcnt lgkmcnt(4)
	v_add_co_u32_e32 v10, vcc, 0x1000, v2
	s_nop 1
	v_addc_co_u32_e32 v11, vcc, 0, v3, vcc
	s_waitcnt lgkmcnt(3)
	global_store_dwordx2 v[10:11], v[8:9], off
	s_or_b64 exec, exec, s[0:1]
	v_cmp_gt_u32_e32 vcc, s2, v17
	s_and_saveexec_b64 s[0:1], vcc
	s_cbranch_execz .LBB21_98
.LBB21_113:
	s_waitcnt lgkmcnt(3)
	v_add_co_u32_e32 v8, vcc, 0x1000, v2
	s_nop 1
	v_addc_co_u32_e32 v9, vcc, 0, v3, vcc
	s_waitcnt lgkmcnt(2)
	global_store_dwordx2 v[8:9], v[6:7], off offset:1024
	s_or_b64 exec, exec, s[0:1]
	v_cmp_gt_u32_e32 vcc, s2, v16
	s_and_saveexec_b64 s[0:1], vcc
	s_cbranch_execnz .LBB21_99
	s_branch .LBB21_100
	.section	.rodata,"a",@progbits
	.p2align	6, 0x0
	.amdhsa_kernel _ZN7rocprim17ROCPRIM_304000_NS6detail35device_block_merge_mergepath_kernelINS1_37wrapped_merge_sort_block_merge_configINS0_14default_configEmN2at4cuda3cub6detail10OpaqueTypeILi8EEEEEPmSC_PSA_SD_jNS1_19radix_merge_compareILb0ELb1EmNS0_19identity_decomposerEEEEEvT0_T1_T2_T3_T4_SL_jT5_PKSL_NS1_7vsmem_tE
		.amdhsa_group_segment_fixed_size 8448
		.amdhsa_private_segment_fixed_size 0
		.amdhsa_kernarg_size 328
		.amdhsa_user_sgpr_count 2
		.amdhsa_user_sgpr_dispatch_ptr 0
		.amdhsa_user_sgpr_queue_ptr 0
		.amdhsa_user_sgpr_kernarg_segment_ptr 1
		.amdhsa_user_sgpr_dispatch_id 0
		.amdhsa_user_sgpr_kernarg_preload_length 0
		.amdhsa_user_sgpr_kernarg_preload_offset 0
		.amdhsa_user_sgpr_private_segment_size 0
		.amdhsa_uses_dynamic_stack 0
		.amdhsa_enable_private_segment 0
		.amdhsa_system_sgpr_workgroup_id_x 1
		.amdhsa_system_sgpr_workgroup_id_y 1
		.amdhsa_system_sgpr_workgroup_id_z 1
		.amdhsa_system_sgpr_workgroup_info 0
		.amdhsa_system_vgpr_workitem_id 0
		.amdhsa_next_free_vgpr 49
		.amdhsa_next_free_sgpr 38
		.amdhsa_accum_offset 52
		.amdhsa_reserve_vcc 1
		.amdhsa_float_round_mode_32 0
		.amdhsa_float_round_mode_16_64 0
		.amdhsa_float_denorm_mode_32 3
		.amdhsa_float_denorm_mode_16_64 3
		.amdhsa_dx10_clamp 1
		.amdhsa_ieee_mode 1
		.amdhsa_fp16_overflow 0
		.amdhsa_tg_split 0
		.amdhsa_exception_fp_ieee_invalid_op 0
		.amdhsa_exception_fp_denorm_src 0
		.amdhsa_exception_fp_ieee_div_zero 0
		.amdhsa_exception_fp_ieee_overflow 0
		.amdhsa_exception_fp_ieee_underflow 0
		.amdhsa_exception_fp_ieee_inexact 0
		.amdhsa_exception_int_div_zero 0
	.end_amdhsa_kernel
	.section	.text._ZN7rocprim17ROCPRIM_304000_NS6detail35device_block_merge_mergepath_kernelINS1_37wrapped_merge_sort_block_merge_configINS0_14default_configEmN2at4cuda3cub6detail10OpaqueTypeILi8EEEEEPmSC_PSA_SD_jNS1_19radix_merge_compareILb0ELb1EmNS0_19identity_decomposerEEEEEvT0_T1_T2_T3_T4_SL_jT5_PKSL_NS1_7vsmem_tE,"axG",@progbits,_ZN7rocprim17ROCPRIM_304000_NS6detail35device_block_merge_mergepath_kernelINS1_37wrapped_merge_sort_block_merge_configINS0_14default_configEmN2at4cuda3cub6detail10OpaqueTypeILi8EEEEEPmSC_PSA_SD_jNS1_19radix_merge_compareILb0ELb1EmNS0_19identity_decomposerEEEEEvT0_T1_T2_T3_T4_SL_jT5_PKSL_NS1_7vsmem_tE,comdat
.Lfunc_end21:
	.size	_ZN7rocprim17ROCPRIM_304000_NS6detail35device_block_merge_mergepath_kernelINS1_37wrapped_merge_sort_block_merge_configINS0_14default_configEmN2at4cuda3cub6detail10OpaqueTypeILi8EEEEEPmSC_PSA_SD_jNS1_19radix_merge_compareILb0ELb1EmNS0_19identity_decomposerEEEEEvT0_T1_T2_T3_T4_SL_jT5_PKSL_NS1_7vsmem_tE, .Lfunc_end21-_ZN7rocprim17ROCPRIM_304000_NS6detail35device_block_merge_mergepath_kernelINS1_37wrapped_merge_sort_block_merge_configINS0_14default_configEmN2at4cuda3cub6detail10OpaqueTypeILi8EEEEEPmSC_PSA_SD_jNS1_19radix_merge_compareILb0ELb1EmNS0_19identity_decomposerEEEEEvT0_T1_T2_T3_T4_SL_jT5_PKSL_NS1_7vsmem_tE
                                        ; -- End function
	.set _ZN7rocprim17ROCPRIM_304000_NS6detail35device_block_merge_mergepath_kernelINS1_37wrapped_merge_sort_block_merge_configINS0_14default_configEmN2at4cuda3cub6detail10OpaqueTypeILi8EEEEEPmSC_PSA_SD_jNS1_19radix_merge_compareILb0ELb1EmNS0_19identity_decomposerEEEEEvT0_T1_T2_T3_T4_SL_jT5_PKSL_NS1_7vsmem_tE.num_vgpr, 49
	.set _ZN7rocprim17ROCPRIM_304000_NS6detail35device_block_merge_mergepath_kernelINS1_37wrapped_merge_sort_block_merge_configINS0_14default_configEmN2at4cuda3cub6detail10OpaqueTypeILi8EEEEEPmSC_PSA_SD_jNS1_19radix_merge_compareILb0ELb1EmNS0_19identity_decomposerEEEEEvT0_T1_T2_T3_T4_SL_jT5_PKSL_NS1_7vsmem_tE.num_agpr, 0
	.set _ZN7rocprim17ROCPRIM_304000_NS6detail35device_block_merge_mergepath_kernelINS1_37wrapped_merge_sort_block_merge_configINS0_14default_configEmN2at4cuda3cub6detail10OpaqueTypeILi8EEEEEPmSC_PSA_SD_jNS1_19radix_merge_compareILb0ELb1EmNS0_19identity_decomposerEEEEEvT0_T1_T2_T3_T4_SL_jT5_PKSL_NS1_7vsmem_tE.numbered_sgpr, 38
	.set _ZN7rocprim17ROCPRIM_304000_NS6detail35device_block_merge_mergepath_kernelINS1_37wrapped_merge_sort_block_merge_configINS0_14default_configEmN2at4cuda3cub6detail10OpaqueTypeILi8EEEEEPmSC_PSA_SD_jNS1_19radix_merge_compareILb0ELb1EmNS0_19identity_decomposerEEEEEvT0_T1_T2_T3_T4_SL_jT5_PKSL_NS1_7vsmem_tE.num_named_barrier, 0
	.set _ZN7rocprim17ROCPRIM_304000_NS6detail35device_block_merge_mergepath_kernelINS1_37wrapped_merge_sort_block_merge_configINS0_14default_configEmN2at4cuda3cub6detail10OpaqueTypeILi8EEEEEPmSC_PSA_SD_jNS1_19radix_merge_compareILb0ELb1EmNS0_19identity_decomposerEEEEEvT0_T1_T2_T3_T4_SL_jT5_PKSL_NS1_7vsmem_tE.private_seg_size, 0
	.set _ZN7rocprim17ROCPRIM_304000_NS6detail35device_block_merge_mergepath_kernelINS1_37wrapped_merge_sort_block_merge_configINS0_14default_configEmN2at4cuda3cub6detail10OpaqueTypeILi8EEEEEPmSC_PSA_SD_jNS1_19radix_merge_compareILb0ELb1EmNS0_19identity_decomposerEEEEEvT0_T1_T2_T3_T4_SL_jT5_PKSL_NS1_7vsmem_tE.uses_vcc, 1
	.set _ZN7rocprim17ROCPRIM_304000_NS6detail35device_block_merge_mergepath_kernelINS1_37wrapped_merge_sort_block_merge_configINS0_14default_configEmN2at4cuda3cub6detail10OpaqueTypeILi8EEEEEPmSC_PSA_SD_jNS1_19radix_merge_compareILb0ELb1EmNS0_19identity_decomposerEEEEEvT0_T1_T2_T3_T4_SL_jT5_PKSL_NS1_7vsmem_tE.uses_flat_scratch, 0
	.set _ZN7rocprim17ROCPRIM_304000_NS6detail35device_block_merge_mergepath_kernelINS1_37wrapped_merge_sort_block_merge_configINS0_14default_configEmN2at4cuda3cub6detail10OpaqueTypeILi8EEEEEPmSC_PSA_SD_jNS1_19radix_merge_compareILb0ELb1EmNS0_19identity_decomposerEEEEEvT0_T1_T2_T3_T4_SL_jT5_PKSL_NS1_7vsmem_tE.has_dyn_sized_stack, 0
	.set _ZN7rocprim17ROCPRIM_304000_NS6detail35device_block_merge_mergepath_kernelINS1_37wrapped_merge_sort_block_merge_configINS0_14default_configEmN2at4cuda3cub6detail10OpaqueTypeILi8EEEEEPmSC_PSA_SD_jNS1_19radix_merge_compareILb0ELb1EmNS0_19identity_decomposerEEEEEvT0_T1_T2_T3_T4_SL_jT5_PKSL_NS1_7vsmem_tE.has_recursion, 0
	.set _ZN7rocprim17ROCPRIM_304000_NS6detail35device_block_merge_mergepath_kernelINS1_37wrapped_merge_sort_block_merge_configINS0_14default_configEmN2at4cuda3cub6detail10OpaqueTypeILi8EEEEEPmSC_PSA_SD_jNS1_19radix_merge_compareILb0ELb1EmNS0_19identity_decomposerEEEEEvT0_T1_T2_T3_T4_SL_jT5_PKSL_NS1_7vsmem_tE.has_indirect_call, 0
	.section	.AMDGPU.csdata,"",@progbits
; Kernel info:
; codeLenInByte = 5716
; TotalNumSgprs: 44
; NumVgprs: 49
; NumAgprs: 0
; TotalNumVgprs: 49
; ScratchSize: 0
; MemoryBound: 1
; FloatMode: 240
; IeeeMode: 1
; LDSByteSize: 8448 bytes/workgroup (compile time only)
; SGPRBlocks: 5
; VGPRBlocks: 6
; NumSGPRsForWavesPerEU: 44
; NumVGPRsForWavesPerEU: 49
; AccumOffset: 52
; Occupancy: 8
; WaveLimiterHint : 1
; COMPUTE_PGM_RSRC2:SCRATCH_EN: 0
; COMPUTE_PGM_RSRC2:USER_SGPR: 2
; COMPUTE_PGM_RSRC2:TRAP_HANDLER: 0
; COMPUTE_PGM_RSRC2:TGID_X_EN: 1
; COMPUTE_PGM_RSRC2:TGID_Y_EN: 1
; COMPUTE_PGM_RSRC2:TGID_Z_EN: 1
; COMPUTE_PGM_RSRC2:TIDIG_COMP_CNT: 0
; COMPUTE_PGM_RSRC3_GFX90A:ACCUM_OFFSET: 12
; COMPUTE_PGM_RSRC3_GFX90A:TG_SPLIT: 0
	.section	.text._ZN7rocprim17ROCPRIM_304000_NS6detail33device_block_merge_oddeven_kernelINS1_37wrapped_merge_sort_block_merge_configINS0_14default_configEmN2at4cuda3cub6detail10OpaqueTypeILi8EEEEEPmSC_PSA_SD_jNS1_19radix_merge_compareILb0ELb1EmNS0_19identity_decomposerEEEEEvT0_T1_T2_T3_T4_SL_T5_,"axG",@progbits,_ZN7rocprim17ROCPRIM_304000_NS6detail33device_block_merge_oddeven_kernelINS1_37wrapped_merge_sort_block_merge_configINS0_14default_configEmN2at4cuda3cub6detail10OpaqueTypeILi8EEEEEPmSC_PSA_SD_jNS1_19radix_merge_compareILb0ELb1EmNS0_19identity_decomposerEEEEEvT0_T1_T2_T3_T4_SL_T5_,comdat
	.protected	_ZN7rocprim17ROCPRIM_304000_NS6detail33device_block_merge_oddeven_kernelINS1_37wrapped_merge_sort_block_merge_configINS0_14default_configEmN2at4cuda3cub6detail10OpaqueTypeILi8EEEEEPmSC_PSA_SD_jNS1_19radix_merge_compareILb0ELb1EmNS0_19identity_decomposerEEEEEvT0_T1_T2_T3_T4_SL_T5_ ; -- Begin function _ZN7rocprim17ROCPRIM_304000_NS6detail33device_block_merge_oddeven_kernelINS1_37wrapped_merge_sort_block_merge_configINS0_14default_configEmN2at4cuda3cub6detail10OpaqueTypeILi8EEEEEPmSC_PSA_SD_jNS1_19radix_merge_compareILb0ELb1EmNS0_19identity_decomposerEEEEEvT0_T1_T2_T3_T4_SL_T5_
	.globl	_ZN7rocprim17ROCPRIM_304000_NS6detail33device_block_merge_oddeven_kernelINS1_37wrapped_merge_sort_block_merge_configINS0_14default_configEmN2at4cuda3cub6detail10OpaqueTypeILi8EEEEEPmSC_PSA_SD_jNS1_19radix_merge_compareILb0ELb1EmNS0_19identity_decomposerEEEEEvT0_T1_T2_T3_T4_SL_T5_
	.p2align	8
	.type	_ZN7rocprim17ROCPRIM_304000_NS6detail33device_block_merge_oddeven_kernelINS1_37wrapped_merge_sort_block_merge_configINS0_14default_configEmN2at4cuda3cub6detail10OpaqueTypeILi8EEEEEPmSC_PSA_SD_jNS1_19radix_merge_compareILb0ELb1EmNS0_19identity_decomposerEEEEEvT0_T1_T2_T3_T4_SL_T5_,@function
_ZN7rocprim17ROCPRIM_304000_NS6detail33device_block_merge_oddeven_kernelINS1_37wrapped_merge_sort_block_merge_configINS0_14default_configEmN2at4cuda3cub6detail10OpaqueTypeILi8EEEEEPmSC_PSA_SD_jNS1_19radix_merge_compareILb0ELb1EmNS0_19identity_decomposerEEEEEvT0_T1_T2_T3_T4_SL_T5_: ; @_ZN7rocprim17ROCPRIM_304000_NS6detail33device_block_merge_oddeven_kernelINS1_37wrapped_merge_sort_block_merge_configINS0_14default_configEmN2at4cuda3cub6detail10OpaqueTypeILi8EEEEEPmSC_PSA_SD_jNS1_19radix_merge_compareILb0ELb1EmNS0_19identity_decomposerEEEEEvT0_T1_T2_T3_T4_SL_T5_
; %bb.0:
	s_load_dwordx2 s[18:19], s[0:1], 0x20
	s_waitcnt lgkmcnt(0)
	s_lshr_b32 s3, s18, 8
	s_cmp_eq_u32 s2, s3
	s_cselect_b64 s[16:17], -1, 0
	s_cmp_lg_u32 s2, s3
	s_cselect_b64 s[4:5], -1, 0
	s_lshl_b32 s20, s2, 8
	s_sub_i32 s3, s18, s20
	v_cmp_gt_u32_e64 s[6:7], s3, v0
	s_or_b64 s[4:5], s[4:5], s[6:7]
	s_and_saveexec_b64 s[8:9], s[4:5]
	s_cbranch_execz .LBB22_24
; %bb.1:
	s_load_dwordx8 s[8:15], s[0:1], 0x0
	s_mov_b32 s21, 0
	s_lshl_b64 s[4:5], s[20:21], 3
	v_lshlrev_b32_e32 v1, 3, v0
	v_add_u32_e32 v0, s20, v0
	s_waitcnt lgkmcnt(0)
	s_add_u32 s22, s8, s4
	s_addc_u32 s23, s9, s5
	s_add_u32 s4, s12, s4
	s_addc_u32 s5, s13, s5
	global_load_dwordx2 v[2:3], v1, s[4:5]
	global_load_dwordx2 v[4:5], v1, s[22:23]
	s_lshr_b32 s3, s19, 8
	s_sub_i32 s4, 0, s3
	s_and_b32 s2, s2, s4
	s_and_b32 s3, s2, s3
	s_lshl_b32 s21, s2, 8
	s_sub_i32 s12, 0, s19
	s_cmp_eq_u32 s3, 0
	s_cselect_b64 s[4:5], -1, 0
	s_and_b64 s[2:3], s[4:5], exec
	s_cselect_b32 s12, s19, s12
	s_add_i32 s12, s12, s21
	s_mov_b64 s[2:3], -1
	s_cmp_gt_u32 s18, s12
	s_cbranch_scc1 .LBB22_9
; %bb.2:
	s_and_b64 vcc, exec, s[16:17]
	s_cbranch_vccz .LBB22_6
; %bb.3:
	v_cmp_gt_u32_e32 vcc, s18, v0
	s_and_saveexec_b64 s[2:3], vcc
	s_cbranch_execz .LBB22_5
; %bb.4:
	v_mov_b32_e32 v1, 0
	v_lshlrev_b64 v[6:7], 3, v[0:1]
	v_lshl_add_u64 v[8:9], s[14:15], 0, v[6:7]
	v_lshl_add_u64 v[6:7], s[10:11], 0, v[6:7]
	s_waitcnt vmcnt(0)
	global_store_dwordx2 v[6:7], v[4:5], off
	global_store_dwordx2 v[8:9], v[2:3], off
.LBB22_5:
	s_or_b64 exec, exec, s[2:3]
	s_mov_b64 s[2:3], 0
.LBB22_6:
	s_andn2_b64 vcc, exec, s[2:3]
	s_cbranch_vccnz .LBB22_8
; %bb.7:
	v_mov_b32_e32 v1, 0
	v_lshlrev_b64 v[6:7], 3, v[0:1]
	v_lshl_add_u64 v[8:9], s[10:11], 0, v[6:7]
	v_lshl_add_u64 v[6:7], s[14:15], 0, v[6:7]
	s_waitcnt vmcnt(0)
	global_store_dwordx2 v[8:9], v[4:5], off
	global_store_dwordx2 v[6:7], v[2:3], off
.LBB22_8:
	s_mov_b64 s[2:3], 0
.LBB22_9:
	s_andn2_b64 vcc, exec, s[2:3]
	s_cbranch_vccnz .LBB22_24
; %bb.10:
	s_load_dwordx2 s[0:1], s[0:1], 0x28
	s_min_u32 s13, s12, s18
	s_add_i32 s2, s13, s19
	s_min_u32 s18, s2, s18
	s_min_u32 s2, s21, s13
	s_add_i32 s21, s21, s13
	v_subrev_u32_e32 v0, s21, v0
	v_add_u32_e32 v8, s2, v0
	s_waitcnt vmcnt(0) lgkmcnt(0)
	v_and_b32_e32 v1, s1, v5
	v_and_b32_e32 v0, s0, v4
	s_mov_b64 s[2:3], -1
	s_and_b64 vcc, exec, s[16:17]
	s_cbranch_vccz .LBB22_18
; %bb.11:
	s_and_saveexec_b64 s[2:3], s[6:7]
	s_cbranch_execz .LBB22_17
; %bb.12:
	s_cmp_ge_u32 s12, s18
	v_mov_b32_e32 v9, s13
	s_cbranch_scc1 .LBB22_16
; %bb.13:
	s_mov_b64 s[6:7], 0
	v_mov_b32_e32 v10, s18
	v_mov_b32_e32 v9, s13
	;; [unrolled: 1-line block ×3, first 2 shown]
.LBB22_14:                              ; =>This Inner Loop Header: Depth=1
	v_add_u32_e32 v6, v9, v10
	v_lshrrev_b32_e32 v6, 1, v6
	v_lshl_add_u64 v[12:13], v[6:7], 3, s[8:9]
	global_load_dwordx2 v[12:13], v[12:13], off
	v_add_u32_e32 v11, 1, v6
	s_waitcnt vmcnt(0)
	v_and_b32_e32 v13, s1, v13
	v_and_b32_e32 v12, s0, v12
	v_cmp_gt_u64_e32 vcc, v[0:1], v[12:13]
	s_nop 1
	v_cndmask_b32_e64 v14, 0, 1, vcc
	v_cmp_le_u64_e32 vcc, v[12:13], v[0:1]
	s_nop 1
	v_cndmask_b32_e64 v12, 0, 1, vcc
	v_cndmask_b32_e64 v12, v12, v14, s[4:5]
	v_and_b32_e32 v12, 1, v12
	v_cmp_eq_u32_e32 vcc, 1, v12
	s_nop 1
	v_cndmask_b32_e32 v10, v6, v10, vcc
	v_cndmask_b32_e32 v9, v9, v11, vcc
	v_cmp_ge_u32_e32 vcc, v9, v10
	s_or_b64 s[6:7], vcc, s[6:7]
	s_andn2_b64 exec, exec, s[6:7]
	s_cbranch_execnz .LBB22_14
; %bb.15:
	s_or_b64 exec, exec, s[6:7]
.LBB22_16:
	v_add_u32_e32 v6, v9, v8
	v_mov_b32_e32 v7, 0
	v_lshlrev_b64 v[6:7], 3, v[6:7]
	v_lshl_add_u64 v[10:11], s[10:11], 0, v[6:7]
	v_lshl_add_u64 v[6:7], s[14:15], 0, v[6:7]
	global_store_dwordx2 v[10:11], v[4:5], off
	global_store_dwordx2 v[6:7], v[2:3], off
.LBB22_17:
	s_or_b64 exec, exec, s[2:3]
	s_mov_b64 s[2:3], 0
.LBB22_18:
	s_andn2_b64 vcc, exec, s[2:3]
	s_cbranch_vccnz .LBB22_24
; %bb.19:
	s_cmp_ge_u32 s12, s18
	v_mov_b32_e32 v9, s13
	s_cbranch_scc1 .LBB22_23
; %bb.20:
	s_mov_b64 s[2:3], 0
	v_mov_b32_e32 v10, s18
	v_mov_b32_e32 v9, s13
	;; [unrolled: 1-line block ×3, first 2 shown]
.LBB22_21:                              ; =>This Inner Loop Header: Depth=1
	v_add_u32_e32 v6, v9, v10
	v_lshrrev_b32_e32 v6, 1, v6
	v_lshl_add_u64 v[12:13], v[6:7], 3, s[8:9]
	global_load_dwordx2 v[12:13], v[12:13], off
	v_add_u32_e32 v11, 1, v6
	s_waitcnt vmcnt(0)
	v_and_b32_e32 v13, s1, v13
	v_and_b32_e32 v12, s0, v12
	v_cmp_gt_u64_e32 vcc, v[0:1], v[12:13]
	s_nop 1
	v_cndmask_b32_e64 v14, 0, 1, vcc
	v_cmp_le_u64_e32 vcc, v[12:13], v[0:1]
	s_nop 1
	v_cndmask_b32_e64 v12, 0, 1, vcc
	v_cndmask_b32_e64 v12, v12, v14, s[4:5]
	v_and_b32_e32 v12, 1, v12
	v_cmp_eq_u32_e32 vcc, 1, v12
	s_nop 1
	v_cndmask_b32_e32 v10, v6, v10, vcc
	v_cndmask_b32_e32 v9, v9, v11, vcc
	v_cmp_ge_u32_e32 vcc, v9, v10
	s_or_b64 s[2:3], vcc, s[2:3]
	s_andn2_b64 exec, exec, s[2:3]
	s_cbranch_execnz .LBB22_21
; %bb.22:
	s_or_b64 exec, exec, s[2:3]
.LBB22_23:
	v_add_u32_e32 v0, v9, v8
	v_mov_b32_e32 v1, 0
	v_lshlrev_b64 v[0:1], 3, v[0:1]
	v_lshl_add_u64 v[6:7], s[10:11], 0, v[0:1]
	v_lshl_add_u64 v[0:1], s[14:15], 0, v[0:1]
	global_store_dwordx2 v[6:7], v[4:5], off
	global_store_dwordx2 v[0:1], v[2:3], off
.LBB22_24:
	s_endpgm
	.section	.rodata,"a",@progbits
	.p2align	6, 0x0
	.amdhsa_kernel _ZN7rocprim17ROCPRIM_304000_NS6detail33device_block_merge_oddeven_kernelINS1_37wrapped_merge_sort_block_merge_configINS0_14default_configEmN2at4cuda3cub6detail10OpaqueTypeILi8EEEEEPmSC_PSA_SD_jNS1_19radix_merge_compareILb0ELb1EmNS0_19identity_decomposerEEEEEvT0_T1_T2_T3_T4_SL_T5_
		.amdhsa_group_segment_fixed_size 0
		.amdhsa_private_segment_fixed_size 0
		.amdhsa_kernarg_size 48
		.amdhsa_user_sgpr_count 2
		.amdhsa_user_sgpr_dispatch_ptr 0
		.amdhsa_user_sgpr_queue_ptr 0
		.amdhsa_user_sgpr_kernarg_segment_ptr 1
		.amdhsa_user_sgpr_dispatch_id 0
		.amdhsa_user_sgpr_kernarg_preload_length 0
		.amdhsa_user_sgpr_kernarg_preload_offset 0
		.amdhsa_user_sgpr_private_segment_size 0
		.amdhsa_uses_dynamic_stack 0
		.amdhsa_enable_private_segment 0
		.amdhsa_system_sgpr_workgroup_id_x 1
		.amdhsa_system_sgpr_workgroup_id_y 0
		.amdhsa_system_sgpr_workgroup_id_z 0
		.amdhsa_system_sgpr_workgroup_info 0
		.amdhsa_system_vgpr_workitem_id 0
		.amdhsa_next_free_vgpr 15
		.amdhsa_next_free_sgpr 24
		.amdhsa_accum_offset 16
		.amdhsa_reserve_vcc 1
		.amdhsa_float_round_mode_32 0
		.amdhsa_float_round_mode_16_64 0
		.amdhsa_float_denorm_mode_32 3
		.amdhsa_float_denorm_mode_16_64 3
		.amdhsa_dx10_clamp 1
		.amdhsa_ieee_mode 1
		.amdhsa_fp16_overflow 0
		.amdhsa_tg_split 0
		.amdhsa_exception_fp_ieee_invalid_op 0
		.amdhsa_exception_fp_denorm_src 0
		.amdhsa_exception_fp_ieee_div_zero 0
		.amdhsa_exception_fp_ieee_overflow 0
		.amdhsa_exception_fp_ieee_underflow 0
		.amdhsa_exception_fp_ieee_inexact 0
		.amdhsa_exception_int_div_zero 0
	.end_amdhsa_kernel
	.section	.text._ZN7rocprim17ROCPRIM_304000_NS6detail33device_block_merge_oddeven_kernelINS1_37wrapped_merge_sort_block_merge_configINS0_14default_configEmN2at4cuda3cub6detail10OpaqueTypeILi8EEEEEPmSC_PSA_SD_jNS1_19radix_merge_compareILb0ELb1EmNS0_19identity_decomposerEEEEEvT0_T1_T2_T3_T4_SL_T5_,"axG",@progbits,_ZN7rocprim17ROCPRIM_304000_NS6detail33device_block_merge_oddeven_kernelINS1_37wrapped_merge_sort_block_merge_configINS0_14default_configEmN2at4cuda3cub6detail10OpaqueTypeILi8EEEEEPmSC_PSA_SD_jNS1_19radix_merge_compareILb0ELb1EmNS0_19identity_decomposerEEEEEvT0_T1_T2_T3_T4_SL_T5_,comdat
.Lfunc_end22:
	.size	_ZN7rocprim17ROCPRIM_304000_NS6detail33device_block_merge_oddeven_kernelINS1_37wrapped_merge_sort_block_merge_configINS0_14default_configEmN2at4cuda3cub6detail10OpaqueTypeILi8EEEEEPmSC_PSA_SD_jNS1_19radix_merge_compareILb0ELb1EmNS0_19identity_decomposerEEEEEvT0_T1_T2_T3_T4_SL_T5_, .Lfunc_end22-_ZN7rocprim17ROCPRIM_304000_NS6detail33device_block_merge_oddeven_kernelINS1_37wrapped_merge_sort_block_merge_configINS0_14default_configEmN2at4cuda3cub6detail10OpaqueTypeILi8EEEEEPmSC_PSA_SD_jNS1_19radix_merge_compareILb0ELb1EmNS0_19identity_decomposerEEEEEvT0_T1_T2_T3_T4_SL_T5_
                                        ; -- End function
	.set _ZN7rocprim17ROCPRIM_304000_NS6detail33device_block_merge_oddeven_kernelINS1_37wrapped_merge_sort_block_merge_configINS0_14default_configEmN2at4cuda3cub6detail10OpaqueTypeILi8EEEEEPmSC_PSA_SD_jNS1_19radix_merge_compareILb0ELb1EmNS0_19identity_decomposerEEEEEvT0_T1_T2_T3_T4_SL_T5_.num_vgpr, 15
	.set _ZN7rocprim17ROCPRIM_304000_NS6detail33device_block_merge_oddeven_kernelINS1_37wrapped_merge_sort_block_merge_configINS0_14default_configEmN2at4cuda3cub6detail10OpaqueTypeILi8EEEEEPmSC_PSA_SD_jNS1_19radix_merge_compareILb0ELb1EmNS0_19identity_decomposerEEEEEvT0_T1_T2_T3_T4_SL_T5_.num_agpr, 0
	.set _ZN7rocprim17ROCPRIM_304000_NS6detail33device_block_merge_oddeven_kernelINS1_37wrapped_merge_sort_block_merge_configINS0_14default_configEmN2at4cuda3cub6detail10OpaqueTypeILi8EEEEEPmSC_PSA_SD_jNS1_19radix_merge_compareILb0ELb1EmNS0_19identity_decomposerEEEEEvT0_T1_T2_T3_T4_SL_T5_.numbered_sgpr, 24
	.set _ZN7rocprim17ROCPRIM_304000_NS6detail33device_block_merge_oddeven_kernelINS1_37wrapped_merge_sort_block_merge_configINS0_14default_configEmN2at4cuda3cub6detail10OpaqueTypeILi8EEEEEPmSC_PSA_SD_jNS1_19radix_merge_compareILb0ELb1EmNS0_19identity_decomposerEEEEEvT0_T1_T2_T3_T4_SL_T5_.num_named_barrier, 0
	.set _ZN7rocprim17ROCPRIM_304000_NS6detail33device_block_merge_oddeven_kernelINS1_37wrapped_merge_sort_block_merge_configINS0_14default_configEmN2at4cuda3cub6detail10OpaqueTypeILi8EEEEEPmSC_PSA_SD_jNS1_19radix_merge_compareILb0ELb1EmNS0_19identity_decomposerEEEEEvT0_T1_T2_T3_T4_SL_T5_.private_seg_size, 0
	.set _ZN7rocprim17ROCPRIM_304000_NS6detail33device_block_merge_oddeven_kernelINS1_37wrapped_merge_sort_block_merge_configINS0_14default_configEmN2at4cuda3cub6detail10OpaqueTypeILi8EEEEEPmSC_PSA_SD_jNS1_19radix_merge_compareILb0ELb1EmNS0_19identity_decomposerEEEEEvT0_T1_T2_T3_T4_SL_T5_.uses_vcc, 1
	.set _ZN7rocprim17ROCPRIM_304000_NS6detail33device_block_merge_oddeven_kernelINS1_37wrapped_merge_sort_block_merge_configINS0_14default_configEmN2at4cuda3cub6detail10OpaqueTypeILi8EEEEEPmSC_PSA_SD_jNS1_19radix_merge_compareILb0ELb1EmNS0_19identity_decomposerEEEEEvT0_T1_T2_T3_T4_SL_T5_.uses_flat_scratch, 0
	.set _ZN7rocprim17ROCPRIM_304000_NS6detail33device_block_merge_oddeven_kernelINS1_37wrapped_merge_sort_block_merge_configINS0_14default_configEmN2at4cuda3cub6detail10OpaqueTypeILi8EEEEEPmSC_PSA_SD_jNS1_19radix_merge_compareILb0ELb1EmNS0_19identity_decomposerEEEEEvT0_T1_T2_T3_T4_SL_T5_.has_dyn_sized_stack, 0
	.set _ZN7rocprim17ROCPRIM_304000_NS6detail33device_block_merge_oddeven_kernelINS1_37wrapped_merge_sort_block_merge_configINS0_14default_configEmN2at4cuda3cub6detail10OpaqueTypeILi8EEEEEPmSC_PSA_SD_jNS1_19radix_merge_compareILb0ELb1EmNS0_19identity_decomposerEEEEEvT0_T1_T2_T3_T4_SL_T5_.has_recursion, 0
	.set _ZN7rocprim17ROCPRIM_304000_NS6detail33device_block_merge_oddeven_kernelINS1_37wrapped_merge_sort_block_merge_configINS0_14default_configEmN2at4cuda3cub6detail10OpaqueTypeILi8EEEEEPmSC_PSA_SD_jNS1_19radix_merge_compareILb0ELb1EmNS0_19identity_decomposerEEEEEvT0_T1_T2_T3_T4_SL_T5_.has_indirect_call, 0
	.section	.AMDGPU.csdata,"",@progbits
; Kernel info:
; codeLenInByte = 800
; TotalNumSgprs: 30
; NumVgprs: 15
; NumAgprs: 0
; TotalNumVgprs: 15
; ScratchSize: 0
; MemoryBound: 0
; FloatMode: 240
; IeeeMode: 1
; LDSByteSize: 0 bytes/workgroup (compile time only)
; SGPRBlocks: 3
; VGPRBlocks: 1
; NumSGPRsForWavesPerEU: 30
; NumVGPRsForWavesPerEU: 15
; AccumOffset: 16
; Occupancy: 8
; WaveLimiterHint : 0
; COMPUTE_PGM_RSRC2:SCRATCH_EN: 0
; COMPUTE_PGM_RSRC2:USER_SGPR: 2
; COMPUTE_PGM_RSRC2:TRAP_HANDLER: 0
; COMPUTE_PGM_RSRC2:TGID_X_EN: 1
; COMPUTE_PGM_RSRC2:TGID_Y_EN: 0
; COMPUTE_PGM_RSRC2:TGID_Z_EN: 0
; COMPUTE_PGM_RSRC2:TIDIG_COMP_CNT: 0
; COMPUTE_PGM_RSRC3_GFX90A:ACCUM_OFFSET: 3
; COMPUTE_PGM_RSRC3_GFX90A:TG_SPLIT: 0
	.section	.text._ZN7rocprim17ROCPRIM_304000_NS6detail26onesweep_histograms_kernelINS1_34wrapped_radix_sort_onesweep_configINS0_14default_configEmN2at4cuda3cub6detail10OpaqueTypeILi8EEEEELb0EPKmmNS0_19identity_decomposerEEEvT1_PT2_SG_SG_T3_jj,"axG",@progbits,_ZN7rocprim17ROCPRIM_304000_NS6detail26onesweep_histograms_kernelINS1_34wrapped_radix_sort_onesweep_configINS0_14default_configEmN2at4cuda3cub6detail10OpaqueTypeILi8EEEEELb0EPKmmNS0_19identity_decomposerEEEvT1_PT2_SG_SG_T3_jj,comdat
	.protected	_ZN7rocprim17ROCPRIM_304000_NS6detail26onesweep_histograms_kernelINS1_34wrapped_radix_sort_onesweep_configINS0_14default_configEmN2at4cuda3cub6detail10OpaqueTypeILi8EEEEELb0EPKmmNS0_19identity_decomposerEEEvT1_PT2_SG_SG_T3_jj ; -- Begin function _ZN7rocprim17ROCPRIM_304000_NS6detail26onesweep_histograms_kernelINS1_34wrapped_radix_sort_onesweep_configINS0_14default_configEmN2at4cuda3cub6detail10OpaqueTypeILi8EEEEELb0EPKmmNS0_19identity_decomposerEEEvT1_PT2_SG_SG_T3_jj
	.globl	_ZN7rocprim17ROCPRIM_304000_NS6detail26onesweep_histograms_kernelINS1_34wrapped_radix_sort_onesweep_configINS0_14default_configEmN2at4cuda3cub6detail10OpaqueTypeILi8EEEEELb0EPKmmNS0_19identity_decomposerEEEvT1_PT2_SG_SG_T3_jj
	.p2align	8
	.type	_ZN7rocprim17ROCPRIM_304000_NS6detail26onesweep_histograms_kernelINS1_34wrapped_radix_sort_onesweep_configINS0_14default_configEmN2at4cuda3cub6detail10OpaqueTypeILi8EEEEELb0EPKmmNS0_19identity_decomposerEEEvT1_PT2_SG_SG_T3_jj,@function
_ZN7rocprim17ROCPRIM_304000_NS6detail26onesweep_histograms_kernelINS1_34wrapped_radix_sort_onesweep_configINS0_14default_configEmN2at4cuda3cub6detail10OpaqueTypeILi8EEEEELb0EPKmmNS0_19identity_decomposerEEEvT1_PT2_SG_SG_T3_jj: ; @_ZN7rocprim17ROCPRIM_304000_NS6detail26onesweep_histograms_kernelINS1_34wrapped_radix_sort_onesweep_configINS0_14default_configEmN2at4cuda3cub6detail10OpaqueTypeILi8EEEEELb0EPKmmNS0_19identity_decomposerEEEvT1_PT2_SG_SG_T3_jj
; %bb.0:
	s_load_dwordx8 s[12:19], s[0:1], 0x0
	s_load_dwordx2 s[20:21], s[0:1], 0x24
	v_mov_b32_e32 v2, s2
	v_mov_b32_e32 v3, 0
	s_mul_hi_u32 s0, s2, 0xc000
	s_mul_i32 s2, s2, 0xc000
	s_waitcnt lgkmcnt(0)
	v_cmp_le_u64_e32 vcc, s[18:19], v[2:3]
	s_add_u32 s22, s12, s2
	s_addc_u32 s23, s13, s0
	s_mov_b64 s[0:1], -1
	v_lshlrev_b32_e32 v2, 3, v0
	s_cbranch_vccz .LBB23_50
; %bb.1:
	s_mul_i32 s12, s18, 0xffffe800
	s_add_i32 s12, s12, s16
	v_lshl_add_u64 v[16:17], s[22:23], 0, v[2:3]
	v_cmp_gt_u32_e64 s[10:11], s12, v0
                                        ; implicit-def: $vgpr14_vgpr15
	s_and_saveexec_b64 s[0:1], s[10:11]
	s_cbranch_execz .LBB23_3
; %bb.2:
	global_load_dwordx2 v[14:15], v[16:17], off
.LBB23_3:
	s_or_b64 exec, exec, s[0:1]
	v_or_b32_e32 v1, 0x400, v0
	v_cmp_gt_u32_e64 s[8:9], s12, v1
                                        ; implicit-def: $vgpr12_vgpr13
	s_and_saveexec_b64 s[0:1], s[8:9]
	s_cbranch_execz .LBB23_5
; %bb.4:
	v_add_co_u32_e32 v4, vcc, 0x2000, v16
	s_nop 1
	v_addc_co_u32_e32 v5, vcc, 0, v17, vcc
	global_load_dwordx2 v[12:13], v[4:5], off
.LBB23_5:
	s_or_b64 exec, exec, s[0:1]
	v_or_b32_e32 v1, 0x800, v0
	v_cmp_gt_u32_e64 s[6:7], s12, v1
                                        ; implicit-def: $vgpr10_vgpr11
	s_and_saveexec_b64 s[0:1], s[6:7]
	s_cbranch_execz .LBB23_7
; %bb.6:
	v_add_co_u32_e32 v4, vcc, 0x4000, v16
	s_nop 1
	v_addc_co_u32_e32 v5, vcc, 0, v17, vcc
	global_load_dwordx2 v[10:11], v[4:5], off
.LBB23_7:
	s_or_b64 exec, exec, s[0:1]
	v_or_b32_e32 v1, 0xc00, v0
	v_cmp_gt_u32_e64 s[4:5], s12, v1
                                        ; implicit-def: $vgpr8_vgpr9
	s_and_saveexec_b64 s[0:1], s[4:5]
	s_cbranch_execz .LBB23_9
; %bb.8:
	v_add_co_u32_e32 v4, vcc, 0x6000, v16
	s_nop 1
	v_addc_co_u32_e32 v5, vcc, 0, v17, vcc
	global_load_dwordx2 v[8:9], v[4:5], off
.LBB23_9:
	s_or_b64 exec, exec, s[0:1]
	v_or_b32_e32 v1, 0x1000, v0
	v_cmp_gt_u32_e64 s[2:3], s12, v1
                                        ; implicit-def: $vgpr6_vgpr7
	s_and_saveexec_b64 s[0:1], s[2:3]
	s_cbranch_execz .LBB23_11
; %bb.10:
	v_add_co_u32_e32 v4, vcc, 0x8000, v16
	s_nop 1
	v_addc_co_u32_e32 v5, vcc, 0, v17, vcc
	global_load_dwordx2 v[6:7], v[4:5], off
.LBB23_11:
	s_or_b64 exec, exec, s[0:1]
	v_or_b32_e32 v1, 0x1400, v0
	v_cmp_gt_u32_e64 s[0:1], s12, v1
                                        ; implicit-def: $vgpr4_vgpr5
	s_and_saveexec_b64 s[12:13], s[0:1]
	s_cbranch_execz .LBB23_13
; %bb.12:
	v_add_co_u32_e32 v4, vcc, 0xa000, v16
	s_nop 1
	v_addc_co_u32_e32 v5, vcc, 0, v17, vcc
	global_load_dwordx2 v[4:5], v[4:5], off
.LBB23_13:
	s_or_b64 exec, exec, s[12:13]
	v_sub_u32_e32 v1, 0xaff, v0
	v_lshrrev_b32_e32 v16, 10, v1
	v_add_u32_e32 v1, 2, v16
	s_mov_b32 s16, 0
	v_and_b32_e32 v3, 6, v1
	v_mov_b32_e32 v1, v16
	v_lshlrev_b32_e32 v17, 2, v0
	s_mov_b32 s17, 1
	s_mov_b64 s[18:19], 0
	v_mov_b32_e32 v18, 0
	s_mov_b32 s24, s16
	s_branch .LBB23_15
.LBB23_14:                              ;   in Loop: Header=BB23_15 Depth=1
	s_or_b64 exec, exec, s[12:13]
	s_add_i32 s24, s24, 2
	v_cmp_eq_u32_e32 vcc, s24, v3
	s_or_b64 s[18:19], vcc, s[18:19]
	v_add_u32_e32 v17, 0x2000, v17
	s_andn2_b64 exec, exec, s[18:19]
	s_cbranch_execz .LBB23_19
.LBB23_15:                              ; =>This Inner Loop Header: Depth=1
	s_mov_b32 s25, s24
	s_or_b64 s[12:13], s[24:25], s[16:17]
	v_cmp_le_u32_e32 vcc, s13, v1
	v_cmp_le_u32_e64 s[12:13], s12, v16
	s_and_saveexec_b64 s[26:27], s[12:13]
; %bb.16:                               ;   in Loop: Header=BB23_15 Depth=1
	ds_write_b32 v17, v18
; %bb.17:                               ;   in Loop: Header=BB23_15 Depth=1
	s_or_b64 exec, exec, s[26:27]
	s_and_saveexec_b64 s[12:13], vcc
	s_cbranch_execz .LBB23_14
; %bb.18:                               ;   in Loop: Header=BB23_15 Depth=1
	ds_write_b32 v17, v18 offset:4096
	s_branch .LBB23_14
.LBB23_19:
	s_or_b64 exec, exec, s[18:19]
	s_cmp_gt_u32 s21, s20
	s_cselect_b64 s[12:13], -1, 0
	s_cmp_le_u32 s21, s20
	s_waitcnt lgkmcnt(0)
	s_barrier
	s_cbranch_scc1 .LBB23_44
; %bb.20:
	v_and_b32_e32 v1, 3, v0
	v_lshlrev_b32_e32 v1, 2, v1
	s_sub_i32 s18, s21, s20
	v_mov_b32_e32 v3, 1
	s_mov_b32 s19, s18
	v_mov_b32_e32 v16, v1
	s_mov_b32 s24, s20
	s_branch .LBB23_22
.LBB23_21:                              ;   in Loop: Header=BB23_22 Depth=1
	s_or_b64 exec, exec, s[16:17]
	s_add_i32 s24, s24, 6
	s_add_i32 s19, s19, -6
	s_cmp_lt_u32 s24, s21
	v_add_u32_e32 v16, 0x400, v16
	s_cbranch_scc0 .LBB23_24
.LBB23_22:                              ; =>This Inner Loop Header: Depth=1
	s_and_saveexec_b64 s[16:17], s[10:11]
	s_cbranch_execz .LBB23_21
; %bb.23:                               ;   in Loop: Header=BB23_22 Depth=1
	s_min_u32 s25, s19, 6
	s_waitcnt vmcnt(0)
	v_lshrrev_b64 v[18:19], s24, v[14:15]
	v_bfe_u32 v17, v18, 0, s25
	v_lshl_add_u32 v17, v17, 4, v16
	ds_add_u32 v17, v3
	s_branch .LBB23_21
.LBB23_24:
	v_mov_b32_e32 v3, 1
	s_mov_b32 s16, s18
	s_waitcnt vmcnt(0)
	v_mov_b32_e32 v14, v1
	s_mov_b32 s17, s20
	s_branch .LBB23_26
.LBB23_25:                              ;   in Loop: Header=BB23_26 Depth=1
	s_or_b64 exec, exec, s[10:11]
	s_add_i32 s17, s17, 6
	s_add_i32 s16, s16, -6
	s_cmp_lt_u32 s17, s21
	v_add_u32_e32 v14, 0x400, v14
	s_cbranch_scc0 .LBB23_28
.LBB23_26:                              ; =>This Inner Loop Header: Depth=1
	s_and_saveexec_b64 s[10:11], s[8:9]
	s_cbranch_execz .LBB23_25
; %bb.27:                               ;   in Loop: Header=BB23_26 Depth=1
	s_min_u32 s19, s16, 6
	v_lshrrev_b64 v[16:17], s17, v[12:13]
	v_bfe_u32 v15, v16, 0, s19
	v_lshl_add_u32 v15, v15, 4, v14
	ds_add_u32 v15, v3
	s_branch .LBB23_25
.LBB23_28:
	v_mov_b32_e32 v3, 1
	s_mov_b32 s10, s18
	v_mov_b32_e32 v12, v1
	s_mov_b32 s11, s20
	s_branch .LBB23_30
.LBB23_29:                              ;   in Loop: Header=BB23_30 Depth=1
	s_or_b64 exec, exec, s[8:9]
	s_add_i32 s11, s11, 6
	s_add_i32 s10, s10, -6
	s_cmp_lt_u32 s11, s21
	v_add_u32_e32 v12, 0x400, v12
	s_cbranch_scc0 .LBB23_32
.LBB23_30:                              ; =>This Inner Loop Header: Depth=1
	s_and_saveexec_b64 s[8:9], s[6:7]
	s_cbranch_execz .LBB23_29
; %bb.31:                               ;   in Loop: Header=BB23_30 Depth=1
	s_min_u32 s16, s10, 6
	v_lshrrev_b64 v[14:15], s11, v[10:11]
	v_bfe_u32 v13, v14, 0, s16
	v_lshl_add_u32 v13, v13, 4, v12
	ds_add_u32 v13, v3
	s_branch .LBB23_29
.LBB23_32:
	v_mov_b32_e32 v3, 1
	s_mov_b32 s8, s18
	v_mov_b32_e32 v10, v1
	s_mov_b32 s9, s20
	s_branch .LBB23_34
.LBB23_33:                              ;   in Loop: Header=BB23_34 Depth=1
	s_or_b64 exec, exec, s[6:7]
	s_add_i32 s9, s9, 6
	s_add_i32 s8, s8, -6
	s_cmp_lt_u32 s9, s21
	v_add_u32_e32 v10, 0x400, v10
	s_cbranch_scc0 .LBB23_36
.LBB23_34:                              ; =>This Inner Loop Header: Depth=1
	s_and_saveexec_b64 s[6:7], s[4:5]
	s_cbranch_execz .LBB23_33
; %bb.35:                               ;   in Loop: Header=BB23_34 Depth=1
	s_min_u32 s10, s8, 6
	v_lshrrev_b64 v[12:13], s9, v[8:9]
	v_bfe_u32 v11, v12, 0, s10
	v_lshl_add_u32 v11, v11, 4, v10
	ds_add_u32 v11, v3
	s_branch .LBB23_33
.LBB23_36:
	v_mov_b32_e32 v3, 1
	s_mov_b32 s6, s18
	v_mov_b32_e32 v8, v1
	s_mov_b32 s7, s20
	s_branch .LBB23_38
.LBB23_37:                              ;   in Loop: Header=BB23_38 Depth=1
	s_or_b64 exec, exec, s[4:5]
	s_add_i32 s7, s7, 6
	s_add_i32 s6, s6, -6
	s_cmp_lt_u32 s7, s21
	v_add_u32_e32 v8, 0x400, v8
	s_cbranch_scc0 .LBB23_40
.LBB23_38:                              ; =>This Inner Loop Header: Depth=1
	s_and_saveexec_b64 s[4:5], s[2:3]
	s_cbranch_execz .LBB23_37
; %bb.39:                               ;   in Loop: Header=BB23_38 Depth=1
	s_min_u32 s8, s6, 6
	v_lshrrev_b64 v[10:11], s7, v[6:7]
	v_bfe_u32 v9, v10, 0, s8
	v_lshl_add_u32 v9, v9, 4, v8
	ds_add_u32 v9, v3
	s_branch .LBB23_37
.LBB23_40:
	v_mov_b32_e32 v3, 1
	s_mov_b32 s4, s20
	s_branch .LBB23_42
.LBB23_41:                              ;   in Loop: Header=BB23_42 Depth=1
	s_or_b64 exec, exec, s[2:3]
	s_add_i32 s4, s4, 6
	s_add_i32 s18, s18, -6
	s_cmp_lt_u32 s4, s21
	v_add_u32_e32 v1, 0x400, v1
	s_cbranch_scc0 .LBB23_44
.LBB23_42:                              ; =>This Inner Loop Header: Depth=1
	s_and_saveexec_b64 s[2:3], s[0:1]
	s_cbranch_execz .LBB23_41
; %bb.43:                               ;   in Loop: Header=BB23_42 Depth=1
	s_min_u32 s5, s18, 6
	v_lshrrev_b64 v[6:7], s4, v[4:5]
	v_bfe_u32 v6, v6, 0, s5
	v_lshl_add_u32 v6, v6, 4, v1
	ds_add_u32 v6, v3
	s_branch .LBB23_41
.LBB23_44:
	s_and_b64 vcc, exec, s[12:13]
	s_waitcnt lgkmcnt(0)
	s_barrier
	s_cbranch_vccz .LBB23_49
; %bb.45:
	v_cmp_gt_u32_e32 vcc, 64, v0
	v_lshlrev_b32_e32 v1, 4, v0
	s_waitcnt vmcnt(0)
	v_mov_b32_e32 v5, 0
	v_mov_b32_e32 v4, v0
	s_mov_b32 s2, s20
	s_branch .LBB23_47
.LBB23_46:                              ;   in Loop: Header=BB23_47 Depth=1
	s_or_b64 exec, exec, s[0:1]
	s_add_i32 s2, s2, 6
	v_add_u32_e32 v4, 64, v4
	s_cmp_lt_u32 s2, s21
	v_add_u32_e32 v1, 0x400, v1
	s_cbranch_scc0 .LBB23_49
.LBB23_47:                              ; =>This Inner Loop Header: Depth=1
	s_and_saveexec_b64 s[0:1], vcc
	s_cbranch_execz .LBB23_46
; %bb.48:                               ;   in Loop: Header=BB23_47 Depth=1
	ds_read2_b32 v[6:7], v1 offset1:1
	ds_read2_b32 v[8:9], v1 offset0:2 offset1:3
	v_lshl_add_u64 v[10:11], v[4:5], 3, s[14:15]
	s_waitcnt lgkmcnt(1)
	v_add_u32_e32 v3, v7, v6
	s_waitcnt lgkmcnt(0)
	v_add3_u32 v6, v3, v8, v9
	v_mov_b32_e32 v7, v5
	global_atomic_add_x2 v[10:11], v[6:7], off
	s_branch .LBB23_46
.LBB23_49:
	s_mov_b64 s[0:1], 0
.LBB23_50:
	s_and_b64 vcc, exec, s[0:1]
	s_cbranch_vccz .LBB23_86
; %bb.51:
	v_mov_b32_e32 v3, 0
	s_waitcnt vmcnt(0)
	v_lshl_add_u64 v[4:5], s[22:23], 0, v[2:3]
	v_add_co_u32_e32 v14, vcc, 0x2000, v4
	s_cmp_eq_u32 s20, 0
	s_nop 0
	v_addc_co_u32_e32 v15, vcc, 0, v5, vcc
	v_add_co_u32_e32 v16, vcc, 0x4000, v4
	s_cselect_b64 s[0:1], -1, 0
	s_nop 0
	v_addc_co_u32_e32 v17, vcc, 0, v5, vcc
	v_add_co_u32_e32 v18, vcc, 0x6000, v4
	s_cmp_eq_u32 s21, 64
	s_nop 0
	v_addc_co_u32_e32 v19, vcc, 0, v5, vcc
	v_add_co_u32_e32 v20, vcc, 0x8000, v4
	v_sub_u32_e32 v1, 0xaff, v0
	s_nop 0
	v_addc_co_u32_e32 v21, vcc, 0, v5, vcc
	global_load_dwordx2 v[12:13], v[14:15], off
	global_load_dwordx2 v[10:11], v[16:17], off
	;; [unrolled: 1-line block ×4, first 2 shown]
	v_add_co_u32_e32 v16, vcc, 0xa000, v4
	s_cselect_b64 s[4:5], -1, 0
	s_nop 0
	v_addc_co_u32_e32 v17, vcc, 0, v5, vcc
	global_load_dwordx2 v[14:15], v2, s[22:23]
	global_load_dwordx2 v[4:5], v[16:17], off
	v_lshrrev_b32_e32 v1, 10, v1
	s_and_b64 s[4:5], s[0:1], s[4:5]
	v_add_u32_e32 v16, 2, v1
	s_mov_b32 s2, 0
	v_and_b32_e32 v18, 6, v16
	s_mov_b64 s[0:1], -1
	s_and_b64 vcc, exec, s[4:5]
	v_lshlrev_b32_e32 v19, 2, v0
	s_cbranch_vccnz .LBB23_77
; %bb.52:
	v_lshlrev_b32_e32 v16, 2, v0
	s_mov_b64 s[4:5], 0
	s_mov_b32 s3, 1
	s_mov_b32 s6, s2
	s_branch .LBB23_54
.LBB23_53:                              ;   in Loop: Header=BB23_54 Depth=1
	s_or_b64 exec, exec, s[0:1]
	s_add_i32 s6, s6, 2
	v_cmp_eq_u32_e32 vcc, s6, v18
	s_or_b64 s[4:5], vcc, s[4:5]
	v_add_u32_e32 v16, 0x2000, v16
	s_andn2_b64 exec, exec, s[4:5]
	s_cbranch_execz .LBB23_58
.LBB23_54:                              ; =>This Inner Loop Header: Depth=1
	s_mov_b32 s7, s6
	s_or_b64 s[0:1], s[6:7], s[2:3]
	v_cmp_le_u32_e32 vcc, s1, v1
	v_cmp_le_u32_e64 s[0:1], s0, v1
	s_and_saveexec_b64 s[8:9], s[0:1]
; %bb.55:                               ;   in Loop: Header=BB23_54 Depth=1
	ds_write_b32 v16, v3
; %bb.56:                               ;   in Loop: Header=BB23_54 Depth=1
	s_or_b64 exec, exec, s[8:9]
	s_and_saveexec_b64 s[0:1], vcc
	s_cbranch_execz .LBB23_53
; %bb.57:                               ;   in Loop: Header=BB23_54 Depth=1
	ds_write_b32 v16, v3 offset:4096
	s_branch .LBB23_53
.LBB23_58:
	s_or_b64 exec, exec, s[4:5]
	s_cmp_gt_u32 s21, s20
	s_cselect_b64 s[0:1], -1, 0
	s_cmp_le_u32 s21, s20
	s_waitcnt lgkmcnt(0)
	s_barrier
	s_cbranch_scc1 .LBB23_71
; %bb.59:
	v_and_b32_e32 v3, 3, v0
	v_lshlrev_b32_e32 v3, 2, v3
	s_sub_i32 s2, s21, s20
	v_mov_b32_e32 v16, 1
	s_mov_b32 s3, s2
	v_mov_b32_e32 v17, v3
	s_mov_b32 s4, s20
.LBB23_60:                              ; =>This Inner Loop Header: Depth=1
	s_min_u32 s5, s3, 6
	s_waitcnt vmcnt(1)
	v_lshrrev_b64 v[20:21], s4, v[14:15]
	v_bfe_u32 v20, v20, 0, s5
	v_lshl_add_u32 v20, v20, 4, v17
	ds_add_u32 v20, v16
	s_add_i32 s4, s4, 6
	s_add_i32 s3, s3, -6
	s_cmp_lt_u32 s4, s21
	v_add_u32_e32 v17, 0x400, v17
	s_cbranch_scc1 .LBB23_60
; %bb.61:
	v_mov_b32_e32 v16, 1
	s_mov_b32 s3, s2
	v_mov_b32_e32 v17, v3
	s_mov_b32 s4, s20
.LBB23_62:                              ; =>This Inner Loop Header: Depth=1
	s_min_u32 s5, s3, 6
	v_lshrrev_b64 v[20:21], s4, v[12:13]
	v_bfe_u32 v20, v20, 0, s5
	v_lshl_add_u32 v20, v20, 4, v17
	ds_add_u32 v20, v16
	s_add_i32 s4, s4, 6
	s_add_i32 s3, s3, -6
	s_cmp_lt_u32 s4, s21
	v_add_u32_e32 v17, 0x400, v17
	s_cbranch_scc1 .LBB23_62
; %bb.63:
	v_mov_b32_e32 v16, 1
	s_mov_b32 s3, s2
	v_mov_b32_e32 v17, v3
	s_mov_b32 s4, s20
.LBB23_64:                              ; =>This Inner Loop Header: Depth=1
	s_min_u32 s5, s3, 6
	v_lshrrev_b64 v[20:21], s4, v[10:11]
	v_bfe_u32 v20, v20, 0, s5
	v_lshl_add_u32 v20, v20, 4, v17
	ds_add_u32 v20, v16
	s_add_i32 s4, s4, 6
	s_add_i32 s3, s3, -6
	s_cmp_lt_u32 s4, s21
	v_add_u32_e32 v17, 0x400, v17
	s_cbranch_scc1 .LBB23_64
	;; [unrolled: 16-line block ×4, first 2 shown]
; %bb.69:
	v_mov_b32_e32 v16, 1
	s_mov_b32 s3, s20
.LBB23_70:                              ; =>This Inner Loop Header: Depth=1
	s_min_u32 s4, s2, 6
	s_waitcnt vmcnt(0)
	v_lshrrev_b64 v[20:21], s3, v[4:5]
	v_bfe_u32 v17, v20, 0, s4
	v_lshl_add_u32 v17, v17, 4, v3
	ds_add_u32 v17, v16
	s_add_i32 s3, s3, 6
	s_add_i32 s2, s2, -6
	s_cmp_lt_u32 s3, s21
	v_add_u32_e32 v3, 0x400, v3
	s_cbranch_scc1 .LBB23_70
.LBB23_71:
	s_and_b64 vcc, exec, s[0:1]
	s_waitcnt lgkmcnt(0)
	s_barrier
	s_cbranch_vccz .LBB23_76
; %bb.72:
	v_cmp_gt_u32_e32 vcc, 64, v0
	v_lshlrev_b32_e32 v3, 4, v0
	v_mov_b32_e32 v17, 0
	v_mov_b32_e32 v16, v0
	s_branch .LBB23_74
.LBB23_73:                              ;   in Loop: Header=BB23_74 Depth=1
	s_or_b64 exec, exec, s[0:1]
	s_add_i32 s20, s20, 6
	v_add_u32_e32 v16, 64, v16
	s_cmp_ge_u32 s20, s21
	v_add_u32_e32 v3, 0x400, v3
	s_cbranch_scc1 .LBB23_76
.LBB23_74:                              ; =>This Inner Loop Header: Depth=1
	s_and_saveexec_b64 s[0:1], vcc
	s_cbranch_execz .LBB23_73
; %bb.75:                               ;   in Loop: Header=BB23_74 Depth=1
	ds_read2_b32 v[20:21], v3 offset1:1
	ds_read2_b32 v[22:23], v3 offset0:2 offset1:3
	v_lshl_add_u64 v[24:25], v[16:17], 3, s[14:15]
	s_waitcnt lgkmcnt(1)
	v_add_u32_e32 v20, v21, v20
	s_waitcnt lgkmcnt(0)
	v_add3_u32 v20, v20, v22, v23
	v_mov_b32_e32 v21, v17
	global_atomic_add_x2 v[24:25], v[20:21], off
	s_branch .LBB23_73
.LBB23_76:
	s_mov_b64 s[0:1], 0
.LBB23_77:
	s_and_b64 vcc, exec, s[0:1]
	s_cbranch_vccz .LBB23_86
; %bb.78:
	s_mov_b32 s2, 0
	s_mov_b32 s3, 1
	s_mov_b64 s[4:5], 0
	v_mov_b32_e32 v3, 0
	s_mov_b32 s6, s2
	s_branch .LBB23_80
.LBB23_79:                              ;   in Loop: Header=BB23_80 Depth=1
	s_or_b64 exec, exec, s[0:1]
	s_add_i32 s6, s6, 2
	v_cmp_eq_u32_e32 vcc, s6, v18
	s_or_b64 s[4:5], vcc, s[4:5]
	v_add_u32_e32 v19, 0x2000, v19
	s_andn2_b64 exec, exec, s[4:5]
	s_cbranch_execz .LBB23_84
.LBB23_80:                              ; =>This Inner Loop Header: Depth=1
	s_mov_b32 s7, s6
	s_or_b64 s[0:1], s[6:7], s[2:3]
	v_cmp_le_u32_e32 vcc, s1, v1
	v_cmp_le_u32_e64 s[0:1], s0, v1
	s_and_saveexec_b64 s[8:9], s[0:1]
; %bb.81:                               ;   in Loop: Header=BB23_80 Depth=1
	ds_write_b32 v19, v3
; %bb.82:                               ;   in Loop: Header=BB23_80 Depth=1
	s_or_b64 exec, exec, s[8:9]
	s_and_saveexec_b64 s[0:1], vcc
	s_cbranch_execz .LBB23_79
; %bb.83:                               ;   in Loop: Header=BB23_80 Depth=1
	ds_write_b32 v19, v3 offset:4096
	s_branch .LBB23_79
.LBB23_84:
	s_or_b64 exec, exec, s[4:5]
	v_and_b32_e32 v1, 3, v0
	s_waitcnt vmcnt(1)
	v_lshlrev_b32_e32 v3, 4, v14
	v_lshlrev_b32_e32 v1, 2, v1
	s_movk_i32 s0, 0x3f0
	v_and_or_b32 v3, v3, s0, v1
	v_mov_b32_e32 v16, 1
	s_waitcnt lgkmcnt(0)
	s_barrier
	ds_add_u32 v3, v16
	v_lshrrev_b32_e32 v3, 2, v14
	v_and_or_b32 v3, v3, s0, v1
	ds_add_u32 v3, v16 offset:1024
	v_lshrrev_b32_e32 v3, 8, v14
	v_and_or_b32 v3, v3, s0, v1
	ds_add_u32 v3, v16 offset:2048
	;; [unrolled: 3-line block ×4, first 2 shown]
	v_alignbit_b32 v3, v15, v14, 26
	v_and_or_b32 v3, v3, s0, v1
	ds_add_u32 v3, v16 offset:5120
	v_and_or_b32 v3, v15, s0, v1
	ds_add_u32 v3, v16 offset:6144
	v_lshrrev_b32_e32 v3, 6, v15
	v_and_or_b32 v3, v3, s0, v1
	ds_add_u32 v3, v16 offset:7168
	v_lshrrev_b32_e32 v3, 12, v15
	;; [unrolled: 3-line block ×4, first 2 shown]
	s_movk_i32 s1, 0xf0
	v_and_or_b32 v3, v3, s1, v1
	ds_add_u32 v3, v16 offset:10240
	v_lshlrev_b32_e32 v3, 4, v12
	v_and_or_b32 v3, v3, s0, v1
	ds_add_u32 v3, v16
	v_lshrrev_b32_e32 v3, 2, v12
	v_and_or_b32 v3, v3, s0, v1
	ds_add_u32 v3, v16 offset:1024
	v_lshrrev_b32_e32 v3, 8, v12
	v_and_or_b32 v3, v3, s0, v1
	ds_add_u32 v3, v16 offset:2048
	v_lshrrev_b32_e32 v3, 14, v12
	v_and_or_b32 v3, v3, s0, v1
	ds_add_u32 v3, v16 offset:3072
	v_lshrrev_b32_e32 v3, 20, v12
	v_and_or_b32 v3, v3, s0, v1
	ds_add_u32 v3, v16 offset:4096
	v_alignbit_b32 v3, v13, v12, 26
	v_and_or_b32 v3, v3, s0, v1
	ds_add_u32 v3, v16 offset:5120
	v_and_or_b32 v3, v13, s0, v1
	ds_add_u32 v3, v16 offset:6144
	v_lshrrev_b32_e32 v3, 6, v13
	v_and_or_b32 v3, v3, s0, v1
	ds_add_u32 v3, v16 offset:7168
	v_lshrrev_b32_e32 v3, 12, v13
	v_and_or_b32 v3, v3, s0, v1
	ds_add_u32 v3, v16 offset:8192
	v_lshrrev_b32_e32 v3, 18, v13
	v_and_or_b32 v3, v3, s0, v1
	ds_add_u32 v3, v16 offset:9216
	v_lshrrev_b32_e32 v3, 24, v13
	v_and_or_b32 v3, v3, s1, v1
	ds_add_u32 v3, v16 offset:10240
	v_lshlrev_b32_e32 v3, 4, v10
	v_and_or_b32 v3, v3, s0, v1
	ds_add_u32 v3, v16
	v_lshrrev_b32_e32 v3, 2, v10
	v_and_or_b32 v3, v3, s0, v1
	ds_add_u32 v3, v16 offset:1024
	v_lshrrev_b32_e32 v3, 8, v10
	v_and_or_b32 v3, v3, s0, v1
	ds_add_u32 v3, v16 offset:2048
	v_lshrrev_b32_e32 v3, 14, v10
	v_and_or_b32 v3, v3, s0, v1
	ds_add_u32 v3, v16 offset:3072
	v_lshrrev_b32_e32 v3, 20, v10
	v_and_or_b32 v3, v3, s0, v1
	ds_add_u32 v3, v16 offset:4096
	v_alignbit_b32 v3, v11, v10, 26
	v_and_or_b32 v3, v3, s0, v1
	ds_add_u32 v3, v16 offset:5120
	v_and_or_b32 v3, v11, s0, v1
	ds_add_u32 v3, v16 offset:6144
	v_lshrrev_b32_e32 v3, 6, v11
	v_and_or_b32 v3, v3, s0, v1
	ds_add_u32 v3, v16 offset:7168
	v_lshrrev_b32_e32 v3, 12, v11
	v_and_or_b32 v3, v3, s0, v1
	ds_add_u32 v3, v16 offset:8192
	v_lshrrev_b32_e32 v3, 18, v11
	v_and_or_b32 v3, v3, s0, v1
	ds_add_u32 v3, v16 offset:9216
	v_lshrrev_b32_e32 v3, 24, v11
	;; [unrolled: 32-line block ×4, first 2 shown]
	v_and_or_b32 v3, v3, s1, v1
	ds_add_u32 v3, v16 offset:10240
	s_waitcnt vmcnt(0)
	v_lshlrev_b32_e32 v3, 4, v4
	v_and_or_b32 v3, v3, s0, v1
	ds_add_u32 v3, v16
	v_lshrrev_b32_e32 v3, 2, v4
	v_and_or_b32 v3, v3, s0, v1
	ds_add_u32 v3, v16 offset:1024
	v_lshrrev_b32_e32 v3, 8, v4
	v_and_or_b32 v3, v3, s0, v1
	ds_add_u32 v3, v16 offset:2048
	;; [unrolled: 3-line block ×4, first 2 shown]
	v_alignbit_b32 v3, v5, v4, 26
	v_and_or_b32 v3, v3, s0, v1
	ds_add_u32 v3, v16 offset:5120
	v_and_or_b32 v3, v5, s0, v1
	ds_add_u32 v3, v16 offset:6144
	v_lshrrev_b32_e32 v3, 6, v5
	v_and_or_b32 v3, v3, s0, v1
	ds_add_u32 v3, v16 offset:7168
	v_lshrrev_b32_e32 v3, 12, v5
	;; [unrolled: 3-line block ×4, first 2 shown]
	v_and_or_b32 v1, v3, s1, v1
	ds_add_u32 v1, v16 offset:10240
	v_cmp_gt_u32_e32 vcc, 64, v0
	s_waitcnt lgkmcnt(0)
	s_barrier
	s_and_saveexec_b64 s[0:1], vcc
	s_cbranch_execz .LBB23_86
; %bb.85:
	v_lshlrev_b32_e32 v8, 4, v0
	ds_read2_b32 v[0:1], v8 offset1:1
	ds_read2_b32 v[4:5], v8 offset0:2 offset1:3
	v_mov_b32_e32 v3, 0
	v_mov_b32_e32 v7, v3
	v_add_u32_e32 v9, 0x400, v8
	s_waitcnt lgkmcnt(1)
	v_add_u32_e32 v0, v1, v0
	s_waitcnt lgkmcnt(0)
	v_add3_u32 v6, v0, v4, v5
	global_atomic_add_x2 v2, v[6:7], s[14:15]
	v_add_u32_e32 v4, 0x408, v8
	ds_read2_b32 v[0:1], v9 offset1:1
	ds_read2_b32 v[4:5], v4 offset1:1
	v_add_u32_e32 v9, 0x800, v8
	s_movk_i32 s0, 0x1000
	s_waitcnt lgkmcnt(1)
	v_add_u32_e32 v0, v1, v0
	s_waitcnt lgkmcnt(0)
	v_add3_u32 v6, v0, v4, v5
	global_atomic_add_x2 v2, v[6:7], s[14:15] offset:512
	v_add_u32_e32 v4, 0x808, v8
	ds_read2_b32 v[0:1], v9 offset1:1
	ds_read2_b32 v[4:5], v4 offset1:1
	v_add_u32_e32 v9, 0xc00, v8
	s_waitcnt lgkmcnt(1)
	v_add_u32_e32 v0, v1, v0
	s_waitcnt lgkmcnt(0)
	v_add3_u32 v6, v0, v4, v5
	global_atomic_add_x2 v2, v[6:7], s[14:15] offset:1024
	v_add_u32_e32 v4, 0xc08, v8
	ds_read2_b32 v[0:1], v9 offset1:1
	ds_read2_b32 v[4:5], v4 offset1:1
	v_add_u32_e32 v9, 0x1000, v8
	;; [unrolled: 9-line block ×6, first 2 shown]
	s_waitcnt lgkmcnt(1)
	v_add_u32_e32 v0, v1, v0
	s_waitcnt lgkmcnt(0)
	v_add3_u32 v6, v0, v4, v5
	global_atomic_add_x2 v2, v[6:7], s[14:15] offset:3584
	v_add_u32_e32 v4, 0x2008, v8
	ds_read2_b32 v[0:1], v9 offset1:1
	ds_read2_b32 v[4:5], v4 offset1:1
	v_lshl_add_u64 v[6:7], s[14:15], 0, v[2:3]
	s_waitcnt lgkmcnt(1)
	v_add_u32_e32 v0, v1, v0
	s_waitcnt lgkmcnt(0)
	v_add3_u32 v2, v0, v4, v5
	v_add_co_u32_e32 v0, vcc, s0, v6
	v_add_u32_e32 v6, 0x2408, v8
	s_nop 0
	v_addc_co_u32_e32 v1, vcc, 0, v7, vcc
	global_atomic_add_x2 v[0:1], v[2:3], off
	v_add_u32_e32 v2, 0x2400, v8
	ds_read2_b32 v[4:5], v2 offset1:1
	ds_read2_b32 v[6:7], v6 offset1:1
	s_waitcnt lgkmcnt(1)
	v_add_u32_e32 v2, v5, v4
	s_waitcnt lgkmcnt(0)
	v_add3_u32 v2, v2, v6, v7
	global_atomic_add_x2 v[0:1], v[2:3], off offset:512
	v_add_u32_e32 v2, 0x2800, v8
	v_add_u32_e32 v6, 0x2808, v8
	ds_read2_b32 v[4:5], v2 offset1:1
	ds_read2_b32 v[6:7], v6 offset1:1
	s_waitcnt lgkmcnt(1)
	v_add_u32_e32 v2, v5, v4
	s_waitcnt lgkmcnt(0)
	v_add3_u32 v2, v2, v6, v7
	global_atomic_add_x2 v[0:1], v[2:3], off offset:1024
.LBB23_86:
	s_endpgm
	.section	.rodata,"a",@progbits
	.p2align	6, 0x0
	.amdhsa_kernel _ZN7rocprim17ROCPRIM_304000_NS6detail26onesweep_histograms_kernelINS1_34wrapped_radix_sort_onesweep_configINS0_14default_configEmN2at4cuda3cub6detail10OpaqueTypeILi8EEEEELb0EPKmmNS0_19identity_decomposerEEEvT1_PT2_SG_SG_T3_jj
		.amdhsa_group_segment_fixed_size 11264
		.amdhsa_private_segment_fixed_size 0
		.amdhsa_kernarg_size 44
		.amdhsa_user_sgpr_count 2
		.amdhsa_user_sgpr_dispatch_ptr 0
		.amdhsa_user_sgpr_queue_ptr 0
		.amdhsa_user_sgpr_kernarg_segment_ptr 1
		.amdhsa_user_sgpr_dispatch_id 0
		.amdhsa_user_sgpr_kernarg_preload_length 0
		.amdhsa_user_sgpr_kernarg_preload_offset 0
		.amdhsa_user_sgpr_private_segment_size 0
		.amdhsa_uses_dynamic_stack 0
		.amdhsa_enable_private_segment 0
		.amdhsa_system_sgpr_workgroup_id_x 1
		.amdhsa_system_sgpr_workgroup_id_y 0
		.amdhsa_system_sgpr_workgroup_id_z 0
		.amdhsa_system_sgpr_workgroup_info 0
		.amdhsa_system_vgpr_workitem_id 0
		.amdhsa_next_free_vgpr 26
		.amdhsa_next_free_sgpr 28
		.amdhsa_accum_offset 28
		.amdhsa_reserve_vcc 1
		.amdhsa_float_round_mode_32 0
		.amdhsa_float_round_mode_16_64 0
		.amdhsa_float_denorm_mode_32 3
		.amdhsa_float_denorm_mode_16_64 3
		.amdhsa_dx10_clamp 1
		.amdhsa_ieee_mode 1
		.amdhsa_fp16_overflow 0
		.amdhsa_tg_split 0
		.amdhsa_exception_fp_ieee_invalid_op 0
		.amdhsa_exception_fp_denorm_src 0
		.amdhsa_exception_fp_ieee_div_zero 0
		.amdhsa_exception_fp_ieee_overflow 0
		.amdhsa_exception_fp_ieee_underflow 0
		.amdhsa_exception_fp_ieee_inexact 0
		.amdhsa_exception_int_div_zero 0
	.end_amdhsa_kernel
	.section	.text._ZN7rocprim17ROCPRIM_304000_NS6detail26onesweep_histograms_kernelINS1_34wrapped_radix_sort_onesweep_configINS0_14default_configEmN2at4cuda3cub6detail10OpaqueTypeILi8EEEEELb0EPKmmNS0_19identity_decomposerEEEvT1_PT2_SG_SG_T3_jj,"axG",@progbits,_ZN7rocprim17ROCPRIM_304000_NS6detail26onesweep_histograms_kernelINS1_34wrapped_radix_sort_onesweep_configINS0_14default_configEmN2at4cuda3cub6detail10OpaqueTypeILi8EEEEELb0EPKmmNS0_19identity_decomposerEEEvT1_PT2_SG_SG_T3_jj,comdat
.Lfunc_end23:
	.size	_ZN7rocprim17ROCPRIM_304000_NS6detail26onesweep_histograms_kernelINS1_34wrapped_radix_sort_onesweep_configINS0_14default_configEmN2at4cuda3cub6detail10OpaqueTypeILi8EEEEELb0EPKmmNS0_19identity_decomposerEEEvT1_PT2_SG_SG_T3_jj, .Lfunc_end23-_ZN7rocprim17ROCPRIM_304000_NS6detail26onesweep_histograms_kernelINS1_34wrapped_radix_sort_onesweep_configINS0_14default_configEmN2at4cuda3cub6detail10OpaqueTypeILi8EEEEELb0EPKmmNS0_19identity_decomposerEEEvT1_PT2_SG_SG_T3_jj
                                        ; -- End function
	.set _ZN7rocprim17ROCPRIM_304000_NS6detail26onesweep_histograms_kernelINS1_34wrapped_radix_sort_onesweep_configINS0_14default_configEmN2at4cuda3cub6detail10OpaqueTypeILi8EEEEELb0EPKmmNS0_19identity_decomposerEEEvT1_PT2_SG_SG_T3_jj.num_vgpr, 26
	.set _ZN7rocprim17ROCPRIM_304000_NS6detail26onesweep_histograms_kernelINS1_34wrapped_radix_sort_onesweep_configINS0_14default_configEmN2at4cuda3cub6detail10OpaqueTypeILi8EEEEELb0EPKmmNS0_19identity_decomposerEEEvT1_PT2_SG_SG_T3_jj.num_agpr, 0
	.set _ZN7rocprim17ROCPRIM_304000_NS6detail26onesweep_histograms_kernelINS1_34wrapped_radix_sort_onesweep_configINS0_14default_configEmN2at4cuda3cub6detail10OpaqueTypeILi8EEEEELb0EPKmmNS0_19identity_decomposerEEEvT1_PT2_SG_SG_T3_jj.numbered_sgpr, 28
	.set _ZN7rocprim17ROCPRIM_304000_NS6detail26onesweep_histograms_kernelINS1_34wrapped_radix_sort_onesweep_configINS0_14default_configEmN2at4cuda3cub6detail10OpaqueTypeILi8EEEEELb0EPKmmNS0_19identity_decomposerEEEvT1_PT2_SG_SG_T3_jj.num_named_barrier, 0
	.set _ZN7rocprim17ROCPRIM_304000_NS6detail26onesweep_histograms_kernelINS1_34wrapped_radix_sort_onesweep_configINS0_14default_configEmN2at4cuda3cub6detail10OpaqueTypeILi8EEEEELb0EPKmmNS0_19identity_decomposerEEEvT1_PT2_SG_SG_T3_jj.private_seg_size, 0
	.set _ZN7rocprim17ROCPRIM_304000_NS6detail26onesweep_histograms_kernelINS1_34wrapped_radix_sort_onesweep_configINS0_14default_configEmN2at4cuda3cub6detail10OpaqueTypeILi8EEEEELb0EPKmmNS0_19identity_decomposerEEEvT1_PT2_SG_SG_T3_jj.uses_vcc, 1
	.set _ZN7rocprim17ROCPRIM_304000_NS6detail26onesweep_histograms_kernelINS1_34wrapped_radix_sort_onesweep_configINS0_14default_configEmN2at4cuda3cub6detail10OpaqueTypeILi8EEEEELb0EPKmmNS0_19identity_decomposerEEEvT1_PT2_SG_SG_T3_jj.uses_flat_scratch, 0
	.set _ZN7rocprim17ROCPRIM_304000_NS6detail26onesweep_histograms_kernelINS1_34wrapped_radix_sort_onesweep_configINS0_14default_configEmN2at4cuda3cub6detail10OpaqueTypeILi8EEEEELb0EPKmmNS0_19identity_decomposerEEEvT1_PT2_SG_SG_T3_jj.has_dyn_sized_stack, 0
	.set _ZN7rocprim17ROCPRIM_304000_NS6detail26onesweep_histograms_kernelINS1_34wrapped_radix_sort_onesweep_configINS0_14default_configEmN2at4cuda3cub6detail10OpaqueTypeILi8EEEEELb0EPKmmNS0_19identity_decomposerEEEvT1_PT2_SG_SG_T3_jj.has_recursion, 0
	.set _ZN7rocprim17ROCPRIM_304000_NS6detail26onesweep_histograms_kernelINS1_34wrapped_radix_sort_onesweep_configINS0_14default_configEmN2at4cuda3cub6detail10OpaqueTypeILi8EEEEELb0EPKmmNS0_19identity_decomposerEEEvT1_PT2_SG_SG_T3_jj.has_indirect_call, 0
	.section	.AMDGPU.csdata,"",@progbits
; Kernel info:
; codeLenInByte = 4412
; TotalNumSgprs: 34
; NumVgprs: 26
; NumAgprs: 0
; TotalNumVgprs: 26
; ScratchSize: 0
; MemoryBound: 0
; FloatMode: 240
; IeeeMode: 1
; LDSByteSize: 11264 bytes/workgroup (compile time only)
; SGPRBlocks: 4
; VGPRBlocks: 3
; NumSGPRsForWavesPerEU: 34
; NumVGPRsForWavesPerEU: 26
; AccumOffset: 28
; Occupancy: 8
; WaveLimiterHint : 1
; COMPUTE_PGM_RSRC2:SCRATCH_EN: 0
; COMPUTE_PGM_RSRC2:USER_SGPR: 2
; COMPUTE_PGM_RSRC2:TRAP_HANDLER: 0
; COMPUTE_PGM_RSRC2:TGID_X_EN: 1
; COMPUTE_PGM_RSRC2:TGID_Y_EN: 0
; COMPUTE_PGM_RSRC2:TGID_Z_EN: 0
; COMPUTE_PGM_RSRC2:TIDIG_COMP_CNT: 0
; COMPUTE_PGM_RSRC3_GFX90A:ACCUM_OFFSET: 6
; COMPUTE_PGM_RSRC3_GFX90A:TG_SPLIT: 0
	.section	.text._ZN7rocprim17ROCPRIM_304000_NS6detail25onesweep_iteration_kernelINS1_34wrapped_radix_sort_onesweep_configINS0_14default_configEmN2at4cuda3cub6detail10OpaqueTypeILi8EEEEELb0EPKmPmPKSA_PSA_mNS0_19identity_decomposerEEEvT1_T2_T3_T4_jPT5_SO_PNS1_23onesweep_lookback_stateET6_jjj,"axG",@progbits,_ZN7rocprim17ROCPRIM_304000_NS6detail25onesweep_iteration_kernelINS1_34wrapped_radix_sort_onesweep_configINS0_14default_configEmN2at4cuda3cub6detail10OpaqueTypeILi8EEEEELb0EPKmPmPKSA_PSA_mNS0_19identity_decomposerEEEvT1_T2_T3_T4_jPT5_SO_PNS1_23onesweep_lookback_stateET6_jjj,comdat
	.protected	_ZN7rocprim17ROCPRIM_304000_NS6detail25onesweep_iteration_kernelINS1_34wrapped_radix_sort_onesweep_configINS0_14default_configEmN2at4cuda3cub6detail10OpaqueTypeILi8EEEEELb0EPKmPmPKSA_PSA_mNS0_19identity_decomposerEEEvT1_T2_T3_T4_jPT5_SO_PNS1_23onesweep_lookback_stateET6_jjj ; -- Begin function _ZN7rocprim17ROCPRIM_304000_NS6detail25onesweep_iteration_kernelINS1_34wrapped_radix_sort_onesweep_configINS0_14default_configEmN2at4cuda3cub6detail10OpaqueTypeILi8EEEEELb0EPKmPmPKSA_PSA_mNS0_19identity_decomposerEEEvT1_T2_T3_T4_jPT5_SO_PNS1_23onesweep_lookback_stateET6_jjj
	.globl	_ZN7rocprim17ROCPRIM_304000_NS6detail25onesweep_iteration_kernelINS1_34wrapped_radix_sort_onesweep_configINS0_14default_configEmN2at4cuda3cub6detail10OpaqueTypeILi8EEEEELb0EPKmPmPKSA_PSA_mNS0_19identity_decomposerEEEvT1_T2_T3_T4_jPT5_SO_PNS1_23onesweep_lookback_stateET6_jjj
	.p2align	8
	.type	_ZN7rocprim17ROCPRIM_304000_NS6detail25onesweep_iteration_kernelINS1_34wrapped_radix_sort_onesweep_configINS0_14default_configEmN2at4cuda3cub6detail10OpaqueTypeILi8EEEEELb0EPKmPmPKSA_PSA_mNS0_19identity_decomposerEEEvT1_T2_T3_T4_jPT5_SO_PNS1_23onesweep_lookback_stateET6_jjj,@function
_ZN7rocprim17ROCPRIM_304000_NS6detail25onesweep_iteration_kernelINS1_34wrapped_radix_sort_onesweep_configINS0_14default_configEmN2at4cuda3cub6detail10OpaqueTypeILi8EEEEELb0EPKmPmPKSA_PSA_mNS0_19identity_decomposerEEEvT1_T2_T3_T4_jPT5_SO_PNS1_23onesweep_lookback_stateET6_jjj: ; @_ZN7rocprim17ROCPRIM_304000_NS6detail25onesweep_iteration_kernelINS1_34wrapped_radix_sort_onesweep_configINS0_14default_configEmN2at4cuda3cub6detail10OpaqueTypeILi8EEEEELb0EPKmPmPKSA_PSA_mNS0_19identity_decomposerEEEvT1_T2_T3_T4_jPT5_SO_PNS1_23onesweep_lookback_stateET6_jjj
; %bb.0:
	s_load_dwordx4 s[44:47], s[0:1], 0x44
	s_load_dwordx8 s[36:43], s[0:1], 0x0
	s_load_dwordx4 s[28:31], s[0:1], 0x28
	s_load_dwordx2 s[34:35], s[0:1], 0x38
	s_mov_b64 s[4:5], -1
	s_waitcnt lgkmcnt(0)
	s_cmp_ge_u32 s2, s46
	s_mul_i32 s48, s2, 0x1800
	v_mbcnt_lo_u32_b32 v1, -1, 0
	s_cbranch_scc0 .LBB24_96
; %bb.1:
	s_load_dword s3, s[0:1], 0x20
	s_mul_i32 s4, s46, 0xffffe800
	s_mov_b32 s49, 0
	s_lshl_b64 s[46:47], s[48:49], 3
	v_mbcnt_hi_u32_b32 v9, -1, v1
	s_waitcnt lgkmcnt(0)
	s_add_i32 s49, s4, s3
	s_add_u32 s4, s36, s46
	v_and_b32_e32 v2, 0x3c0, v0
	s_addc_u32 s5, s37, s47
	v_mul_u32_u24_e32 v8, 6, v2
	v_mov_b32_e32 v5, 0
	v_lshlrev_b32_e32 v4, 3, v9
	v_lshl_add_u64 v[2:3], s[4:5], 0, v[4:5]
	v_lshlrev_b32_e32 v6, 3, v8
	v_mov_b32_e32 v7, v5
	v_or_b32_e32 v5, v9, v8
	v_lshl_add_u64 v[2:3], v[2:3], 0, v[6:7]
	v_cmp_gt_u32_e32 vcc, s49, v5
	v_mov_b64_e32 v[10:11], -1
	v_mov_b64_e32 v[12:13], -1
	s_and_saveexec_b64 s[4:5], vcc
	s_cbranch_execz .LBB24_3
; %bb.2:
	global_load_dwordx2 v[12:13], v[2:3], off
.LBB24_3:
	s_or_b64 exec, exec, s[4:5]
	v_add_u32_e32 v7, 64, v5
	v_cmp_gt_u32_e64 s[26:27], s49, v7
	s_and_saveexec_b64 s[4:5], s[26:27]
	s_cbranch_execz .LBB24_5
; %bb.4:
	global_load_dwordx2 v[10:11], v[2:3], off offset:512
.LBB24_5:
	s_or_b64 exec, exec, s[4:5]
	v_add_u32_e32 v7, 0x80, v5
	v_cmp_gt_u32_e64 s[4:5], s49, v7
	v_mov_b64_e32 v[14:15], -1
	v_mov_b64_e32 v[16:17], -1
	s_and_saveexec_b64 s[6:7], s[4:5]
	s_cbranch_execz .LBB24_7
; %bb.6:
	global_load_dwordx2 v[16:17], v[2:3], off offset:1024
.LBB24_7:
	s_or_b64 exec, exec, s[6:7]
	v_add_u32_e32 v7, 0xc0, v5
	v_cmp_gt_u32_e64 s[6:7], s49, v7
	s_and_saveexec_b64 s[8:9], s[6:7]
	s_cbranch_execz .LBB24_9
; %bb.8:
	global_load_dwordx2 v[14:15], v[2:3], off offset:1536
.LBB24_9:
	s_or_b64 exec, exec, s[8:9]
	v_add_u32_e32 v7, 0x100, v5
	v_cmp_gt_u32_e64 s[8:9], s49, v7
	v_mov_b64_e32 v[18:19], -1
	v_mov_b64_e32 v[20:21], -1
	s_and_saveexec_b64 s[10:11], s[8:9]
	s_cbranch_execz .LBB24_11
; %bb.10:
	global_load_dwordx2 v[20:21], v[2:3], off offset:2048
.LBB24_11:
	s_or_b64 exec, exec, s[10:11]
	v_add_u32_e32 v5, 0x140, v5
	v_and_b32_e32 v8, 0x3ff, v0
	v_cmp_gt_u32_e64 s[10:11], s49, v5
	s_and_saveexec_b64 s[12:13], s[10:11]
	s_cbranch_execz .LBB24_13
; %bb.12:
	global_load_dwordx2 v[18:19], v[2:3], off offset:2560
.LBB24_13:
	s_or_b64 exec, exec, s[12:13]
	s_load_dword s12, s[0:1], 0x5c
	s_load_dword s3, s[0:1], 0x50
	s_add_u32 s13, s0, 0x50
	s_addc_u32 s14, s1, 0
	v_mov_b32_e32 v22, 0
	s_waitcnt lgkmcnt(0)
	s_lshr_b32 s15, s12, 16
	s_cmp_lt_u32 s2, s3
	s_cselect_b32 s12, 12, 18
	s_add_u32 s12, s13, s12
	s_addc_u32 s13, s14, 0
	global_load_ushort v5, v22, s[12:13]
	v_bfe_u32 v3, v0, 10, 10
	v_bfe_u32 v7, v0, 20, 10
	s_waitcnt vmcnt(1)
	v_lshrrev_b64 v[24:25], s44, v[12:13]
	s_lshl_b32 s12, -1, s45
	v_lshlrev_b32_e32 v2, 3, v8
	v_mov_b32_e32 v23, v22
	v_mad_u32_u24 v7, v7, s15, v3
	v_bitop3_b32 v3, v24, s12, v24 bitop3:0x30
	v_mov_b32_e32 v25, v22
	ds_write_b64 v2, v[22:23] offset:64
	v_and_b32_e32 v24, 1, v3
	v_lshlrev_b32_e32 v23, 30, v3
	s_not_b32 s33, s12
	v_lshl_add_u64 v[26:27], v[24:25], 0, -1
	v_cmp_ne_u32_e64 s[12:13], 0, v24
	v_cmp_gt_i64_e64 s[14:15], 0, v[22:23]
	v_not_b32_e32 v24, v23
	v_lshlrev_b32_e32 v23, 29, v3
	v_xor_b32_e32 v25, s13, v27
	v_xor_b32_e32 v26, s12, v26
	v_ashrrev_i32_e32 v24, 31, v24
	v_cmp_gt_i64_e64 s[12:13], 0, v[22:23]
	v_not_b32_e32 v27, v23
	v_lshlrev_b32_e32 v23, 28, v3
	v_and_b32_e32 v25, exec_hi, v25
	v_and_b32_e32 v26, exec_lo, v26
	v_xor_b32_e32 v29, s15, v24
	v_xor_b32_e32 v24, s14, v24
	v_ashrrev_i32_e32 v27, 31, v27
	v_cmp_gt_i64_e64 s[14:15], 0, v[22:23]
	v_not_b32_e32 v30, v23
	v_lshlrev_b32_e32 v23, 27, v3
	s_movk_i32 s16, 0x44
	v_and_b32_e32 v25, v25, v29
	v_and_b32_e32 v24, v26, v24
	v_xor_b32_e32 v26, s13, v27
	v_xor_b32_e32 v27, s12, v27
	v_ashrrev_i32_e32 v29, 31, v30
	v_cmp_gt_i64_e64 s[12:13], 0, v[22:23]
	v_not_b32_e32 v30, v23
	v_lshlrev_b32_e32 v23, 26, v3
	v_mul_lo_u32 v28, v3, s16
	v_and_b32_e32 v3, v25, v26
	v_and_b32_e32 v24, v24, v27
	v_xor_b32_e32 v25, s15, v29
	v_xor_b32_e32 v26, s14, v29
	v_ashrrev_i32_e32 v27, 31, v30
	v_cmp_gt_i64_e64 s[14:15], 0, v[22:23]
	v_not_b32_e32 v23, v23
	v_and_b32_e32 v3, v3, v25
	v_and_b32_e32 v24, v24, v26
	v_xor_b32_e32 v25, s13, v27
	v_xor_b32_e32 v26, s12, v27
	v_ashrrev_i32_e32 v23, 31, v23
	v_and_b32_e32 v3, v3, v25
	v_and_b32_e32 v24, v24, v26
	v_xor_b32_e32 v25, s15, v23
	v_xor_b32_e32 v23, s14, v23
	v_and_b32_e32 v24, v24, v23
	v_and_b32_e32 v25, v3, v25
	v_mbcnt_lo_u32_b32 v3, v24, 0
	v_mbcnt_hi_u32_b32 v3, v25, v3
	v_cmp_ne_u64_e64 s[12:13], 0, v[24:25]
	v_cmp_eq_u32_e64 s[14:15], 0, v3
	s_and_b64 s[14:15], s[12:13], s[14:15]
	s_waitcnt lgkmcnt(0)
	s_barrier
	s_waitcnt vmcnt(0)
	; wave barrier
	v_mad_u64_u32 v[26:27], s[18:19], v7, v5, v[8:9]
	v_lshrrev_b32_e32 v5, 4, v26
	v_and_b32_e32 v32, 0xffffffc, v5
	v_add_u32_e32 v7, v32, v28
	s_and_saveexec_b64 s[12:13], s[14:15]
; %bb.14:
	v_bcnt_u32_b32 v5, v24, 0
	v_bcnt_u32_b32 v5, v25, v5
	ds_write_b32 v7, v5 offset:64
; %bb.15:
	s_or_b64 exec, exec, s[12:13]
	v_lshrrev_b64 v[24:25], s44, v[10:11]
	v_and_b32_e32 v27, s33, v24
	v_and_b32_e32 v24, 1, v27
	v_mov_b32_e32 v25, v22
	v_lshl_add_u64 v[28:29], v[24:25], 0, -1
	v_cmp_ne_u32_e64 s[12:13], 0, v24
	v_mul_lo_u32 v5, v27, s16
	v_add_u32_e32 v26, v32, v5
	v_xor_b32_e32 v23, s13, v29
	v_and_b32_e32 v25, exec_hi, v23
	v_lshlrev_b32_e32 v23, 30, v27
	v_xor_b32_e32 v24, s12, v28
	v_cmp_gt_i64_e64 s[12:13], 0, v[22:23]
	v_not_b32_e32 v23, v23
	v_ashrrev_i32_e32 v23, 31, v23
	v_and_b32_e32 v24, exec_lo, v24
	v_xor_b32_e32 v28, s13, v23
	v_xor_b32_e32 v23, s12, v23
	v_and_b32_e32 v24, v24, v23
	v_lshlrev_b32_e32 v23, 29, v27
	v_cmp_gt_i64_e64 s[12:13], 0, v[22:23]
	v_not_b32_e32 v23, v23
	v_ashrrev_i32_e32 v23, 31, v23
	v_and_b32_e32 v25, v25, v28
	v_xor_b32_e32 v28, s13, v23
	v_xor_b32_e32 v23, s12, v23
	v_and_b32_e32 v24, v24, v23
	v_lshlrev_b32_e32 v23, 28, v27
	v_cmp_gt_i64_e64 s[12:13], 0, v[22:23]
	v_not_b32_e32 v23, v23
	v_ashrrev_i32_e32 v23, 31, v23
	v_and_b32_e32 v25, v25, v28
	;; [unrolled: 8-line block ×3, first 2 shown]
	v_xor_b32_e32 v28, s13, v23
	v_xor_b32_e32 v23, s12, v23
	v_and_b32_e32 v24, v24, v23
	v_lshlrev_b32_e32 v23, 26, v27
	v_cmp_gt_i64_e64 s[12:13], 0, v[22:23]
	v_not_b32_e32 v22, v23
	v_ashrrev_i32_e32 v22, 31, v22
	v_xor_b32_e32 v23, s13, v22
	v_xor_b32_e32 v22, s12, v22
	; wave barrier
	ds_read_b32 v5, v26 offset:64
	v_and_b32_e32 v25, v25, v28
	v_and_b32_e32 v22, v24, v22
	;; [unrolled: 1-line block ×3, first 2 shown]
	v_mbcnt_lo_u32_b32 v24, v22, 0
	v_mbcnt_hi_u32_b32 v27, v23, v24
	v_cmp_eq_u32_e64 s[12:13], 0, v27
	v_cmp_ne_u64_e64 s[14:15], 0, v[22:23]
	s_and_b64 s[14:15], s[14:15], s[12:13]
	; wave barrier
	s_and_saveexec_b64 s[12:13], s[14:15]
	s_cbranch_execz .LBB24_17
; %bb.16:
	v_bcnt_u32_b32 v22, v22, 0
	v_bcnt_u32_b32 v22, v23, v22
	s_waitcnt lgkmcnt(0)
	v_add_u32_e32 v22, v5, v22
	ds_write_b32 v26, v22 offset:64
.LBB24_17:
	s_or_b64 exec, exec, s[12:13]
	v_lshrrev_b64 v[22:23], s44, v[16:17]
	v_and_b32_e32 v30, s33, v22
	v_mul_lo_u32 v22, v30, s16
	v_add_u32_e32 v29, v32, v22
	v_and_b32_e32 v22, 1, v30
	v_mov_b32_e32 v23, 0
	v_lshl_add_u64 v[24:25], v[22:23], 0, -1
	v_cmp_ne_u32_e64 s[12:13], 0, v22
	; wave barrier
	s_nop 1
	v_xor_b32_e32 v24, s12, v24
	v_xor_b32_e32 v22, s13, v25
	v_and_b32_e32 v31, exec_lo, v24
	v_lshlrev_b32_e32 v25, 30, v30
	v_mov_b32_e32 v24, v23
	v_cmp_gt_i64_e64 s[12:13], 0, v[24:25]
	v_not_b32_e32 v24, v25
	v_ashrrev_i32_e32 v24, 31, v24
	v_and_b32_e32 v22, exec_hi, v22
	v_xor_b32_e32 v25, s13, v24
	v_xor_b32_e32 v24, s12, v24
	v_and_b32_e32 v22, v22, v25
	v_and_b32_e32 v31, v31, v24
	v_lshlrev_b32_e32 v25, 29, v30
	v_mov_b32_e32 v24, v23
	v_cmp_gt_i64_e64 s[12:13], 0, v[24:25]
	v_not_b32_e32 v24, v25
	v_ashrrev_i32_e32 v24, 31, v24
	v_xor_b32_e32 v25, s13, v24
	v_xor_b32_e32 v24, s12, v24
	v_and_b32_e32 v22, v22, v25
	v_and_b32_e32 v31, v31, v24
	v_lshlrev_b32_e32 v25, 28, v30
	v_mov_b32_e32 v24, v23
	v_cmp_gt_i64_e64 s[12:13], 0, v[24:25]
	v_not_b32_e32 v24, v25
	v_ashrrev_i32_e32 v24, 31, v24
	;; [unrolled: 9-line block ×4, first 2 shown]
	v_xor_b32_e32 v25, s13, v24
	v_xor_b32_e32 v24, s12, v24
	ds_read_b32 v28, v29 offset:64
	v_and_b32_e32 v24, v31, v24
	v_and_b32_e32 v25, v22, v25
	v_mbcnt_lo_u32_b32 v22, v24, 0
	v_mbcnt_hi_u32_b32 v30, v25, v22
	v_cmp_eq_u32_e64 s[12:13], 0, v30
	v_cmp_ne_u64_e64 s[14:15], 0, v[24:25]
	s_and_b64 s[14:15], s[14:15], s[12:13]
	; wave barrier
	s_and_saveexec_b64 s[12:13], s[14:15]
	s_cbranch_execz .LBB24_19
; %bb.18:
	v_bcnt_u32_b32 v22, v24, 0
	v_bcnt_u32_b32 v22, v25, v22
	s_waitcnt lgkmcnt(0)
	v_add_u32_e32 v22, v28, v22
	ds_write_b32 v29, v22 offset:64
.LBB24_19:
	s_or_b64 exec, exec, s[12:13]
	v_lshrrev_b64 v[24:25], s44, v[14:15]
	v_and_b32_e32 v34, s33, v24
	v_mul_lo_u32 v22, v34, s16
	v_add_u32_e32 v33, v32, v22
	v_and_b32_e32 v22, 1, v34
	v_lshl_add_u64 v[24:25], v[22:23], 0, -1
	v_cmp_ne_u32_e64 s[12:13], 0, v22
	; wave barrier
	s_nop 1
	v_xor_b32_e32 v24, s12, v24
	v_xor_b32_e32 v22, s13, v25
	v_and_b32_e32 v35, exec_lo, v24
	v_lshlrev_b32_e32 v25, 30, v34
	v_mov_b32_e32 v24, v23
	v_cmp_gt_i64_e64 s[12:13], 0, v[24:25]
	v_not_b32_e32 v24, v25
	v_ashrrev_i32_e32 v24, 31, v24
	v_and_b32_e32 v22, exec_hi, v22
	v_xor_b32_e32 v25, s13, v24
	v_xor_b32_e32 v24, s12, v24
	v_and_b32_e32 v22, v22, v25
	v_and_b32_e32 v35, v35, v24
	v_lshlrev_b32_e32 v25, 29, v34
	v_mov_b32_e32 v24, v23
	v_cmp_gt_i64_e64 s[12:13], 0, v[24:25]
	v_not_b32_e32 v24, v25
	v_ashrrev_i32_e32 v24, 31, v24
	v_xor_b32_e32 v25, s13, v24
	v_xor_b32_e32 v24, s12, v24
	v_and_b32_e32 v22, v22, v25
	v_and_b32_e32 v35, v35, v24
	v_lshlrev_b32_e32 v25, 28, v34
	v_mov_b32_e32 v24, v23
	v_cmp_gt_i64_e64 s[12:13], 0, v[24:25]
	v_not_b32_e32 v24, v25
	v_ashrrev_i32_e32 v24, 31, v24
	;; [unrolled: 9-line block ×3, first 2 shown]
	v_xor_b32_e32 v25, s13, v24
	v_xor_b32_e32 v24, s12, v24
	v_and_b32_e32 v22, v22, v25
	v_lshlrev_b32_e32 v25, 26, v34
	v_and_b32_e32 v35, v35, v24
	v_mov_b32_e32 v24, v23
	v_not_b32_e32 v23, v25
	v_cmp_gt_i64_e64 s[12:13], 0, v[24:25]
	v_ashrrev_i32_e32 v23, 31, v23
	ds_read_b32 v31, v33 offset:64
	v_xor_b32_e32 v24, s13, v23
	v_xor_b32_e32 v25, s12, v23
	v_and_b32_e32 v23, v22, v24
	v_and_b32_e32 v22, v35, v25
	v_mbcnt_lo_u32_b32 v24, v22, 0
	v_mbcnt_hi_u32_b32 v34, v23, v24
	v_cmp_eq_u32_e64 s[12:13], 0, v34
	v_cmp_ne_u64_e64 s[14:15], 0, v[22:23]
	s_and_b64 s[14:15], s[14:15], s[12:13]
	; wave barrier
	s_and_saveexec_b64 s[12:13], s[14:15]
	s_cbranch_execz .LBB24_21
; %bb.20:
	v_bcnt_u32_b32 v22, v22, 0
	v_bcnt_u32_b32 v22, v23, v22
	s_waitcnt lgkmcnt(0)
	v_add_u32_e32 v22, v31, v22
	ds_write_b32 v33, v22 offset:64
.LBB24_21:
	s_or_b64 exec, exec, s[12:13]
	v_lshrrev_b64 v[22:23], s44, v[20:21]
	v_and_b32_e32 v37, s33, v22
	v_mul_lo_u32 v22, v37, s16
	v_add_u32_e32 v36, v32, v22
	v_and_b32_e32 v22, 1, v37
	v_mov_b32_e32 v23, 0
	v_lshl_add_u64 v[24:25], v[22:23], 0, -1
	v_cmp_ne_u32_e64 s[12:13], 0, v22
	; wave barrier
	s_nop 1
	v_xor_b32_e32 v24, s12, v24
	v_xor_b32_e32 v22, s13, v25
	v_and_b32_e32 v38, exec_lo, v24
	v_lshlrev_b32_e32 v25, 30, v37
	v_mov_b32_e32 v24, v23
	v_cmp_gt_i64_e64 s[12:13], 0, v[24:25]
	v_not_b32_e32 v24, v25
	v_ashrrev_i32_e32 v24, 31, v24
	v_and_b32_e32 v22, exec_hi, v22
	v_xor_b32_e32 v25, s13, v24
	v_xor_b32_e32 v24, s12, v24
	v_and_b32_e32 v22, v22, v25
	v_and_b32_e32 v38, v38, v24
	v_lshlrev_b32_e32 v25, 29, v37
	v_mov_b32_e32 v24, v23
	v_cmp_gt_i64_e64 s[12:13], 0, v[24:25]
	v_not_b32_e32 v24, v25
	v_ashrrev_i32_e32 v24, 31, v24
	v_xor_b32_e32 v25, s13, v24
	v_xor_b32_e32 v24, s12, v24
	v_and_b32_e32 v22, v22, v25
	v_and_b32_e32 v38, v38, v24
	v_lshlrev_b32_e32 v25, 28, v37
	v_mov_b32_e32 v24, v23
	v_cmp_gt_i64_e64 s[12:13], 0, v[24:25]
	v_not_b32_e32 v24, v25
	v_ashrrev_i32_e32 v24, 31, v24
	;; [unrolled: 9-line block ×4, first 2 shown]
	v_xor_b32_e32 v25, s13, v24
	v_xor_b32_e32 v24, s12, v24
	ds_read_b32 v35, v36 offset:64
	v_and_b32_e32 v24, v38, v24
	v_and_b32_e32 v25, v22, v25
	v_mbcnt_lo_u32_b32 v22, v24, 0
	v_mbcnt_hi_u32_b32 v37, v25, v22
	v_cmp_eq_u32_e64 s[12:13], 0, v37
	v_cmp_ne_u64_e64 s[14:15], 0, v[24:25]
	s_and_b64 s[14:15], s[14:15], s[12:13]
	; wave barrier
	s_and_saveexec_b64 s[12:13], s[14:15]
	s_cbranch_execz .LBB24_23
; %bb.22:
	v_bcnt_u32_b32 v22, v24, 0
	v_bcnt_u32_b32 v22, v25, v22
	s_waitcnt lgkmcnt(0)
	v_add_u32_e32 v22, v35, v22
	ds_write_b32 v36, v22 offset:64
.LBB24_23:
	s_or_b64 exec, exec, s[12:13]
	v_lshrrev_b64 v[24:25], s44, v[18:19]
	v_and_b32_e32 v25, s33, v24
	v_mul_lo_u32 v22, v25, s16
	v_add_u32_e32 v24, v32, v22
	v_and_b32_e32 v22, 1, v25
	v_lshl_add_u64 v[40:41], v[22:23], 0, -1
	v_cmp_ne_u32_e64 s[12:13], 0, v22
	; wave barrier
	s_nop 1
	v_xor_b32_e32 v22, s13, v41
	v_lshlrev_b32_e32 v41, 30, v25
	v_xor_b32_e32 v32, s12, v40
	v_mov_b32_e32 v40, v23
	v_not_b32_e32 v39, v41
	v_cmp_gt_i64_e64 s[12:13], 0, v[40:41]
	v_ashrrev_i32_e32 v39, 31, v39
	v_and_b32_e32 v22, exec_hi, v22
	v_and_b32_e32 v32, exec_lo, v32
	v_xor_b32_e32 v40, s13, v39
	v_xor_b32_e32 v39, s12, v39
	v_lshlrev_b32_e32 v41, 29, v25
	v_and_b32_e32 v22, v22, v40
	v_and_b32_e32 v32, v32, v39
	v_mov_b32_e32 v40, v23
	v_not_b32_e32 v39, v41
	v_cmp_gt_i64_e64 s[12:13], 0, v[40:41]
	v_ashrrev_i32_e32 v39, 31, v39
	v_lshlrev_b32_e32 v41, 28, v25
	v_xor_b32_e32 v40, s13, v39
	v_xor_b32_e32 v39, s12, v39
	v_and_b32_e32 v22, v22, v40
	v_and_b32_e32 v32, v32, v39
	v_mov_b32_e32 v40, v23
	v_not_b32_e32 v39, v41
	v_cmp_gt_i64_e64 s[12:13], 0, v[40:41]
	v_ashrrev_i32_e32 v39, 31, v39
	v_lshlrev_b32_e32 v41, 27, v25
	v_xor_b32_e32 v40, s13, v39
	v_xor_b32_e32 v39, s12, v39
	v_and_b32_e32 v22, v22, v40
	v_and_b32_e32 v32, v32, v39
	v_mov_b32_e32 v40, v23
	v_not_b32_e32 v39, v41
	v_cmp_gt_i64_e64 s[12:13], 0, v[40:41]
	v_ashrrev_i32_e32 v39, 31, v39
	v_lshlrev_b32_e32 v41, 26, v25
	v_xor_b32_e32 v40, s13, v39
	v_and_b32_e32 v22, v22, v40
	v_mov_b32_e32 v40, v23
	v_not_b32_e32 v23, v41
	v_xor_b32_e32 v39, s12, v39
	v_cmp_gt_i64_e64 s[12:13], 0, v[40:41]
	v_ashrrev_i32_e32 v23, 31, v23
	v_and_b32_e32 v32, v32, v39
	v_xor_b32_e32 v25, s13, v23
	v_xor_b32_e32 v39, s12, v23
	ds_read_b32 v38, v24 offset:64
	v_and_b32_e32 v23, v22, v25
	v_and_b32_e32 v22, v32, v39
	v_mbcnt_lo_u32_b32 v25, v22, 0
	v_mbcnt_hi_u32_b32 v39, v23, v25
	v_cmp_eq_u32_e64 s[12:13], 0, v39
	v_cmp_ne_u64_e64 s[14:15], 0, v[22:23]
	s_and_b64 s[14:15], s[14:15], s[12:13]
	; wave barrier
	s_and_saveexec_b64 s[12:13], s[14:15]
	s_cbranch_execz .LBB24_25
; %bb.24:
	v_bcnt_u32_b32 v22, v22, 0
	v_bcnt_u32_b32 v22, v23, v22
	s_waitcnt lgkmcnt(0)
	v_add_u32_e32 v22, v38, v22
	ds_write_b32 v24, v22 offset:64
.LBB24_25:
	s_or_b64 exec, exec, s[12:13]
	; wave barrier
	s_waitcnt lgkmcnt(0)
	s_barrier
	ds_read_b64 v[22:23], v2 offset:64
	v_and_b32_e32 v25, 15, v9
	v_cmp_eq_u32_e64 s[12:13], 0, v25
	v_cmp_lt_u32_e64 s[14:15], 1, v25
	v_cmp_lt_u32_e64 s[16:17], 3, v25
	s_waitcnt lgkmcnt(0)
	v_add_u32_e32 v23, v23, v22
	v_cmp_lt_u32_e64 s[18:19], 7, v25
	v_cmp_lt_u32_e64 s[20:21], 31, v9
	v_mov_b32_dpp v32, v23 row_shr:1 row_mask:0xf bank_mask:0xf
	v_cndmask_b32_e64 v32, v32, 0, s[12:13]
	v_add_u32_e32 v23, v32, v23
	s_nop 1
	v_mov_b32_dpp v32, v23 row_shr:2 row_mask:0xf bank_mask:0xf
	v_cndmask_b32_e64 v32, 0, v32, s[14:15]
	v_add_u32_e32 v23, v23, v32
	s_nop 1
	;; [unrolled: 4-line block ×3, first 2 shown]
	v_mov_b32_dpp v32, v23 row_shr:8 row_mask:0xf bank_mask:0xf
	v_cndmask_b32_e64 v25, 0, v32, s[18:19]
	v_add_u32_e32 v23, v23, v25
	v_bfe_i32 v32, v9, 4, 1
	s_nop 0
	v_mov_b32_dpp v25, v23 row_bcast:15 row_mask:0xf bank_mask:0xf
	v_and_b32_e32 v25, v32, v25
	v_add_u32_e32 v23, v23, v25
	v_and_b32_e32 v32, 63, v8
	s_nop 0
	v_mov_b32_dpp v25, v23 row_bcast:31 row_mask:0xf bank_mask:0xf
	v_cndmask_b32_e64 v25, 0, v25, s[20:21]
	v_add_u32_e32 v23, v23, v25
	v_lshrrev_b32_e32 v25, 6, v8
	v_cmp_eq_u32_e64 s[20:21], 63, v32
	s_and_saveexec_b64 s[22:23], s[20:21]
; %bb.26:
	v_lshlrev_b32_e32 v32, 2, v25
	ds_write_b32 v32, v23
; %bb.27:
	s_or_b64 exec, exec, s[22:23]
	v_cmp_gt_u32_e64 s[20:21], 16, v8
	s_waitcnt lgkmcnt(0)
	s_barrier
	s_and_saveexec_b64 s[22:23], s[20:21]
	s_cbranch_execz .LBB24_29
; %bb.28:
	v_lshlrev_b32_e32 v32, 2, v8
	ds_read_b32 v40, v32
	s_waitcnt lgkmcnt(0)
	s_nop 0
	v_mov_b32_dpp v41, v40 row_shr:1 row_mask:0xf bank_mask:0xf
	v_cndmask_b32_e64 v41, v41, 0, s[12:13]
	v_add_u32_e32 v40, v41, v40
	s_nop 1
	v_mov_b32_dpp v41, v40 row_shr:2 row_mask:0xf bank_mask:0xf
	v_cndmask_b32_e64 v41, 0, v41, s[14:15]
	v_add_u32_e32 v40, v40, v41
	;; [unrolled: 4-line block ×4, first 2 shown]
	ds_write_b32 v32, v40
.LBB24_29:
	s_or_b64 exec, exec, s[22:23]
	v_cmp_gt_u32_e64 s[14:15], 64, v8
	v_cmp_lt_u32_e64 s[12:13], 63, v8
	v_mov_b32_e32 v32, 0
	s_waitcnt lgkmcnt(0)
	s_barrier
	s_and_saveexec_b64 s[16:17], s[12:13]
; %bb.30:
	v_lshl_add_u32 v25, v25, 2, -4
	ds_read_b32 v32, v25
; %bb.31:
	s_or_b64 exec, exec, s[16:17]
	v_add_u32_e32 v25, -1, v9
	v_and_b32_e32 v40, 64, v9
	v_cmp_lt_i32_e64 s[16:17], v25, v40
	s_waitcnt lgkmcnt(0)
	v_add_u32_e32 v23, v32, v23
	v_cndmask_b32_e64 v25, v25, v9, s[16:17]
	v_lshlrev_b32_e32 v25, 2, v25
	ds_bpermute_b32 v23, v25, v23
	v_cmp_eq_u32_e64 s[16:17], 0, v9
	s_waitcnt lgkmcnt(0)
	s_nop 0
	v_cndmask_b32_e64 v9, v23, v32, s[16:17]
	v_cmp_ne_u32_e64 s[16:17], 0, v8
	s_nop 1
	v_cndmask_b32_e64 v40, 0, v9, s[16:17]
	v_add_u32_e32 v41, v40, v22
	ds_write_b64 v2, v[40:41] offset:64
	s_waitcnt lgkmcnt(0)
	s_barrier
	ds_read_b32 v25, v7 offset:64
	ds_read_b32 v32, v26 offset:64
	;; [unrolled: 1-line block ×6, first 2 shown]
	v_mov_b64_e32 v[22:23], 0
                                        ; implicit-def: $vgpr24
	s_and_saveexec_b64 s[18:19], s[14:15]
	s_cbranch_execz .LBB24_35
; %bb.32:
	v_mul_u32_u24_e32 v22, 0x44, v8
	ds_read_b32 v22, v22 offset:64
	v_add_u32_e32 v24, 1, v8
	v_cmp_ne_u32_e64 s[16:17], 64, v24
	v_mov_b32_e32 v23, 0x1800
	s_and_saveexec_b64 s[20:21], s[16:17]
; %bb.33:
	v_mul_u32_u24_e32 v23, 0x44, v24
	ds_read_b32 v23, v23 offset:64
; %bb.34:
	s_or_b64 exec, exec, s[20:21]
	s_waitcnt lgkmcnt(0)
	v_sub_u32_e32 v24, v23, v22
	v_mov_b32_e32 v23, 0
.LBB24_35:
	s_or_b64 exec, exec, s[18:19]
	v_lshlrev_b32_e32 v3, 3, v3
	s_waitcnt lgkmcnt(5)
	v_lshl_add_u32 v25, v25, 3, v3
	s_waitcnt lgkmcnt(0)
	s_barrier
	ds_write_b64 v25, v[12:13] offset:512
	v_lshlrev_b32_e32 v3, 3, v27
	v_lshlrev_b32_e32 v5, 3, v5
	v_lshlrev_b32_e32 v12, 3, v32
	v_add3_u32 v32, v3, v5, v12
	ds_write_b64 v32, v[10:11] offset:512
	v_lshlrev_b32_e32 v3, 3, v30
	v_lshlrev_b32_e32 v5, 3, v28
	v_lshlrev_b32_e32 v10, 3, v29
	v_add3_u32 v33, v3, v5, v10
	v_lshlrev_b32_e32 v3, 3, v34
	v_lshlrev_b32_e32 v5, 3, v31
	v_lshlrev_b32_e32 v10, 3, v26
	v_add3_u32 v34, v3, v5, v10
	;; [unrolled: 4-line block ×4, first 2 shown]
	v_mov_b32_e32 v11, 0
	ds_write_b64 v33, v[16:17] offset:512
	ds_write_b64 v34, v[14:15] offset:512
	;; [unrolled: 1-line block ×4, first 2 shown]
	s_waitcnt lgkmcnt(0)
	s_barrier
	s_and_saveexec_b64 s[16:17], s[14:15]
	s_cbranch_execz .LBB24_45
; %bb.36:
	v_lshl_add_u32 v10, s2, 6, v8
	v_lshl_add_u64 v[12:13], v[10:11], 2, s[34:35]
	v_or_b32_e32 v3, 2.0, v24
	global_store_dword v[12:13], v3, off sc1
	s_mov_b64 s[18:19], 0
	s_brev_b32 s24, -4
	s_mov_b32 s25, s2
	v_mov_b32_e32 v3, 0
                                        ; implicit-def: $sgpr14_sgpr15
	s_branch .LBB24_39
.LBB24_37:                              ;   in Loop: Header=BB24_39 Depth=1
	s_or_b64 exec, exec, s[22:23]
.LBB24_38:                              ;   in Loop: Header=BB24_39 Depth=1
	s_or_b64 exec, exec, s[20:21]
	v_and_b32_e32 v7, 0x3fffffff, v5
	v_add_u32_e32 v3, v7, v3
	v_cmp_gt_i32_e64 s[14:15], -2.0, v5
	s_and_b64 s[20:21], exec, s[14:15]
	s_or_b64 s[18:19], s[20:21], s[18:19]
	s_andn2_b64 exec, exec, s[18:19]
	s_cbranch_execz .LBB24_44
.LBB24_39:                              ; =>This Loop Header: Depth=1
                                        ;     Child Loop BB24_42 Depth 2
	s_or_b64 s[14:15], s[14:15], exec
	s_cmp_eq_u32 s25, 0
	s_cbranch_scc1 .LBB24_43
; %bb.40:                               ;   in Loop: Header=BB24_39 Depth=1
	s_add_i32 s25, s25, -1
	v_lshl_or_b32 v10, s25, 6, v8
	v_lshl_add_u64 v[14:15], v[10:11], 2, s[34:35]
	global_load_dword v5, v[14:15], off sc1
	s_waitcnt vmcnt(0)
	v_cmp_gt_u32_e64 s[14:15], 2.0, v5
	s_and_saveexec_b64 s[20:21], s[14:15]
	s_cbranch_execz .LBB24_38
; %bb.41:                               ;   in Loop: Header=BB24_39 Depth=1
	s_mov_b64 s[22:23], 0
.LBB24_42:                              ;   Parent Loop BB24_39 Depth=1
                                        ; =>  This Inner Loop Header: Depth=2
	global_load_dword v5, v[14:15], off sc1
	s_waitcnt vmcnt(0)
	v_cmp_lt_u32_e64 s[14:15], s24, v5
	s_or_b64 s[22:23], s[14:15], s[22:23]
	s_andn2_b64 exec, exec, s[22:23]
	s_cbranch_execnz .LBB24_42
	s_branch .LBB24_37
.LBB24_43:                              ;   in Loop: Header=BB24_39 Depth=1
                                        ; implicit-def: $sgpr25
	s_and_b64 s[20:21], exec, s[14:15]
	s_or_b64 s[18:19], s[20:21], s[18:19]
	s_andn2_b64 exec, exec, s[18:19]
	s_cbranch_execnz .LBB24_39
.LBB24_44:
	s_or_b64 exec, exec, s[18:19]
	v_add_u32_e32 v5, v3, v24
	v_or_b32_e32 v5, 0x80000000, v5
	global_store_dword v[12:13], v5, off sc1
	global_load_dwordx2 v[10:11], v2, s[28:29]
	v_sub_co_u32_e64 v12, s[14:15], v3, v22
	s_nop 1
	v_subb_co_u32_e64 v13, s[14:15], 0, v23, s[14:15]
	s_waitcnt vmcnt(0)
	v_lshl_add_u64 v[10:11], v[12:13], 0, v[10:11]
	ds_write_b64 v2, v[10:11]
.LBB24_45:
	s_or_b64 exec, exec, s[16:17]
	v_cmp_gt_u32_e64 s[14:15], s49, v8
	s_waitcnt lgkmcnt(0)
	s_barrier
	s_and_saveexec_b64 s[16:17], s[14:15]
	s_cbranch_execz .LBB24_47
; %bb.46:
	ds_read_b64 v[10:11], v2 offset:512
	s_waitcnt lgkmcnt(0)
	v_lshrrev_b64 v[12:13], s44, v[10:11]
	v_and_b32_e32 v3, s33, v12
	v_lshlrev_b32_e32 v3, 3, v3
	ds_read_b64 v[12:13], v3
	v_mov_b32_e32 v3, 0
	s_waitcnt lgkmcnt(0)
	v_lshl_add_u64 v[12:13], v[12:13], 3, s[38:39]
	v_lshl_add_u64 v[12:13], v[12:13], 0, v[2:3]
	global_store_dwordx2 v[12:13], v[10:11], off
.LBB24_47:
	s_or_b64 exec, exec, s[16:17]
	v_or_b32_e32 v3, 0x400, v8
	v_cmp_gt_u32_e64 s[16:17], s49, v3
	v_lshlrev_b32_e32 v10, 3, v3
	s_and_saveexec_b64 s[18:19], s[16:17]
	s_cbranch_execz .LBB24_49
; %bb.48:
	ds_read_b64 v[12:13], v2 offset:8704
	v_mov_b32_e32 v11, 0
	s_waitcnt lgkmcnt(0)
	v_lshrrev_b64 v[14:15], s44, v[12:13]
	v_and_b32_e32 v3, s33, v14
	v_lshlrev_b32_e32 v3, 3, v3
	ds_read_b64 v[14:15], v3
	s_waitcnt lgkmcnt(0)
	v_lshl_add_u64 v[14:15], v[14:15], 3, s[38:39]
	v_lshl_add_u64 v[14:15], v[14:15], 0, v[10:11]
	global_store_dwordx2 v[14:15], v[12:13], off
.LBB24_49:
	s_or_b64 exec, exec, s[18:19]
	v_or_b32_e32 v3, 0x800, v8
	v_cmp_gt_u32_e64 s[18:19], s49, v3
	v_lshlrev_b32_e32 v12, 3, v3
	s_and_saveexec_b64 s[20:21], s[18:19]
	s_cbranch_execz .LBB24_51
; %bb.50:
	ds_read_b64 v[14:15], v2 offset:16896
	v_mov_b32_e32 v13, 0
	s_waitcnt lgkmcnt(0)
	v_lshrrev_b64 v[16:17], s44, v[14:15]
	v_and_b32_e32 v3, s33, v16
	v_lshlrev_b32_e32 v3, 3, v3
	ds_read_b64 v[16:17], v3
	s_waitcnt lgkmcnt(0)
	v_lshl_add_u64 v[16:17], v[16:17], 3, s[38:39]
	v_lshl_add_u64 v[16:17], v[16:17], 0, v[12:13]
	global_store_dwordx2 v[16:17], v[14:15], off
.LBB24_51:
	s_or_b64 exec, exec, s[20:21]
	v_or_b32_e32 v3, 0xc00, v8
	v_cmp_gt_u32_e64 s[20:21], s49, v3
	v_lshlrev_b32_e32 v14, 3, v3
	s_and_saveexec_b64 s[22:23], s[20:21]
	s_cbranch_execz .LBB24_53
; %bb.52:
	ds_read_b64 v[16:17], v2 offset:25088
	v_mov_b32_e32 v15, 0
	s_waitcnt lgkmcnt(0)
	v_lshrrev_b64 v[18:19], s44, v[16:17]
	v_and_b32_e32 v3, s33, v18
	v_lshlrev_b32_e32 v3, 3, v3
	ds_read_b64 v[18:19], v3
	s_waitcnt lgkmcnt(0)
	v_lshl_add_u64 v[18:19], v[18:19], 3, s[38:39]
	v_lshl_add_u64 v[18:19], v[18:19], 0, v[14:15]
	global_store_dwordx2 v[18:19], v[16:17], off
.LBB24_53:
	s_or_b64 exec, exec, s[22:23]
	v_or_b32_e32 v3, 0x1000, v8
	v_cmp_gt_u32_e64 s[22:23], s49, v3
	v_lshlrev_b32_e32 v16, 3, v3
	s_and_saveexec_b64 s[24:25], s[22:23]
	s_cbranch_execz .LBB24_55
; %bb.54:
	ds_read_b64 v[18:19], v2 offset:33280
	v_mov_b32_e32 v17, 0
	s_waitcnt lgkmcnt(0)
	v_lshrrev_b64 v[20:21], s44, v[18:19]
	v_and_b32_e32 v3, s33, v20
	v_lshlrev_b32_e32 v3, 3, v3
	ds_read_b64 v[20:21], v3
	s_waitcnt lgkmcnt(0)
	v_lshl_add_u64 v[20:21], v[20:21], 3, s[38:39]
	v_lshl_add_u64 v[20:21], v[20:21], 0, v[16:17]
	global_store_dwordx2 v[20:21], v[18:19], off
.LBB24_55:
	s_or_b64 exec, exec, s[24:25]
	v_or_b32_e32 v3, 0x1400, v8
	v_cmp_gt_u32_e64 s[24:25], s49, v3
	v_lshlrev_b32_e32 v8, 3, v3
	s_and_saveexec_b64 s[50:51], s[24:25]
	s_cbranch_execz .LBB24_57
; %bb.56:
	ds_read_b64 v[18:19], v2 offset:41472
	v_mov_b32_e32 v9, 0
	s_waitcnt lgkmcnt(0)
	v_lshrrev_b64 v[20:21], s44, v[18:19]
	v_and_b32_e32 v3, s33, v20
	v_lshlrev_b32_e32 v3, 3, v3
	ds_read_b64 v[20:21], v3
	s_waitcnt lgkmcnt(0)
	v_lshl_add_u64 v[20:21], v[20:21], 3, s[38:39]
	v_lshl_add_u64 v[20:21], v[20:21], 0, v[8:9]
	global_store_dwordx2 v[20:21], v[18:19], off
.LBB24_57:
	s_or_b64 exec, exec, s[50:51]
	s_add_u32 s46, s40, s46
	s_addc_u32 s47, s41, s47
	v_mov_b32_e32 v5, 0
	v_lshl_add_u64 v[18:19], s[46:47], 0, v[4:5]
	v_mov_b32_e32 v7, v5
	v_lshl_add_u64 v[30:31], v[18:19], 0, v[6:7]
                                        ; implicit-def: $vgpr4_vgpr5
	s_and_saveexec_b64 s[46:47], vcc
	s_xor_b64 s[46:47], exec, s[46:47]
	s_cbranch_execz .LBB24_63
; %bb.58:
	global_load_dwordx2 v[4:5], v[30:31], off
	s_or_b64 exec, exec, s[46:47]
                                        ; implicit-def: $vgpr6_vgpr7
	s_and_saveexec_b64 s[46:47], s[26:27]
	s_cbranch_execnz .LBB24_64
.LBB24_59:
	s_or_b64 exec, exec, s[46:47]
                                        ; implicit-def: $vgpr18_vgpr19
	s_and_saveexec_b64 s[26:27], s[4:5]
	s_cbranch_execz .LBB24_65
.LBB24_60:
	global_load_dwordx2 v[18:19], v[30:31], off offset:1024
	s_or_b64 exec, exec, s[26:27]
                                        ; implicit-def: $vgpr20_vgpr21
	s_and_saveexec_b64 s[4:5], s[6:7]
	s_cbranch_execnz .LBB24_66
.LBB24_61:
	s_or_b64 exec, exec, s[4:5]
                                        ; implicit-def: $vgpr26_vgpr27
	s_and_saveexec_b64 s[4:5], s[8:9]
	s_cbranch_execz .LBB24_67
.LBB24_62:
	global_load_dwordx2 v[26:27], v[30:31], off offset:2048
	s_or_b64 exec, exec, s[4:5]
                                        ; implicit-def: $vgpr28_vgpr29
	s_and_saveexec_b64 s[4:5], s[10:11]
	s_cbranch_execnz .LBB24_68
	s_branch .LBB24_69
.LBB24_63:
	s_or_b64 exec, exec, s[46:47]
                                        ; implicit-def: $vgpr6_vgpr7
	s_and_saveexec_b64 s[46:47], s[26:27]
	s_cbranch_execz .LBB24_59
.LBB24_64:
	global_load_dwordx2 v[6:7], v[30:31], off offset:512
	s_or_b64 exec, exec, s[46:47]
                                        ; implicit-def: $vgpr18_vgpr19
	s_and_saveexec_b64 s[26:27], s[4:5]
	s_cbranch_execnz .LBB24_60
.LBB24_65:
	s_or_b64 exec, exec, s[26:27]
                                        ; implicit-def: $vgpr20_vgpr21
	s_and_saveexec_b64 s[4:5], s[6:7]
	s_cbranch_execz .LBB24_61
.LBB24_66:
	global_load_dwordx2 v[20:21], v[30:31], off offset:1536
	s_or_b64 exec, exec, s[4:5]
                                        ; implicit-def: $vgpr26_vgpr27
	s_and_saveexec_b64 s[4:5], s[8:9]
	s_cbranch_execnz .LBB24_62
.LBB24_67:
	s_or_b64 exec, exec, s[4:5]
                                        ; implicit-def: $vgpr28_vgpr29
	s_and_saveexec_b64 s[4:5], s[10:11]
	s_cbranch_execz .LBB24_69
.LBB24_68:
	global_load_dwordx2 v[28:29], v[30:31], off offset:2560
.LBB24_69:
	s_or_b64 exec, exec, s[4:5]
	v_mov_b32_e32 v11, 0
	v_mov_b32_e32 v3, 0
	s_and_saveexec_b64 s[4:5], s[14:15]
	s_cbranch_execz .LBB24_71
; %bb.70:
	ds_read_b64 v[30:31], v2 offset:512
	s_waitcnt lgkmcnt(0)
	v_lshrrev_b64 v[30:31], s44, v[30:31]
	v_and_b32_e32 v3, s33, v30
.LBB24_71:
	s_or_b64 exec, exec, s[4:5]
	s_and_saveexec_b64 s[4:5], s[16:17]
	s_cbranch_execz .LBB24_73
; %bb.72:
	ds_read_b64 v[30:31], v2 offset:8704
	s_waitcnt lgkmcnt(0)
	v_lshrrev_b64 v[30:31], s44, v[30:31]
	v_and_b32_e32 v11, s33, v30
.LBB24_73:
	s_or_b64 exec, exec, s[4:5]
	v_mov_b32_e32 v15, 0
	v_mov_b32_e32 v13, 0
	s_and_saveexec_b64 s[4:5], s[18:19]
	s_cbranch_execz .LBB24_75
; %bb.74:
	ds_read_b64 v[30:31], v2 offset:16896
	s_waitcnt lgkmcnt(0)
	v_lshrrev_b64 v[30:31], s44, v[30:31]
	v_and_b32_e32 v13, s33, v30
.LBB24_75:
	s_or_b64 exec, exec, s[4:5]
	s_and_saveexec_b64 s[4:5], s[20:21]
	s_cbranch_execz .LBB24_77
; %bb.76:
	ds_read_b64 v[30:31], v2 offset:25088
	s_waitcnt lgkmcnt(0)
	v_lshrrev_b64 v[30:31], s44, v[30:31]
	v_and_b32_e32 v15, s33, v30
.LBB24_77:
	;; [unrolled: 20-line block ×3, first 2 shown]
	s_or_b64 exec, exec, s[4:5]
	s_barrier
	s_waitcnt vmcnt(0)
	ds_write_b64 v25, v[4:5] offset:512
	ds_write_b64 v32, v[6:7] offset:512
	;; [unrolled: 1-line block ×6, first 2 shown]
	s_waitcnt lgkmcnt(0)
	s_barrier
	s_and_saveexec_b64 s[4:5], s[14:15]
	s_cbranch_execz .LBB24_87
; %bb.82:
	v_lshlrev_b32_e32 v3, 3, v3
	ds_read_b64 v[4:5], v3
	ds_read_b64 v[6:7], v2 offset:512
	v_mov_b32_e32 v3, 0
	s_waitcnt lgkmcnt(1)
	v_lshl_add_u64 v[4:5], v[4:5], 3, s[42:43]
	v_lshl_add_u64 v[4:5], v[4:5], 0, v[2:3]
	s_waitcnt lgkmcnt(0)
	global_store_dwordx2 v[4:5], v[6:7], off
	s_or_b64 exec, exec, s[4:5]
	s_and_saveexec_b64 s[4:5], s[16:17]
	s_cbranch_execnz .LBB24_88
.LBB24_83:
	s_or_b64 exec, exec, s[4:5]
	s_and_saveexec_b64 s[4:5], s[18:19]
	s_cbranch_execz .LBB24_89
.LBB24_84:
	v_lshlrev_b32_e32 v3, 3, v13
	ds_read_b64 v[4:5], v3
	ds_read_b64 v[6:7], v2 offset:16896
	v_mov_b32_e32 v13, 0
	s_waitcnt lgkmcnt(1)
	v_lshl_add_u64 v[4:5], v[4:5], 3, s[42:43]
	v_lshl_add_u64 v[4:5], v[4:5], 0, v[12:13]
	s_waitcnt lgkmcnt(0)
	global_store_dwordx2 v[4:5], v[6:7], off
	s_or_b64 exec, exec, s[4:5]
	s_and_saveexec_b64 s[4:5], s[20:21]
	s_cbranch_execnz .LBB24_90
.LBB24_85:
	s_or_b64 exec, exec, s[4:5]
	s_and_saveexec_b64 s[4:5], s[22:23]
	s_cbranch_execz .LBB24_91
.LBB24_86:
	v_lshlrev_b32_e32 v3, 3, v17
	ds_read_b64 v[4:5], v3
	ds_read_b64 v[6:7], v2 offset:33280
	v_mov_b32_e32 v17, 0
	s_waitcnt lgkmcnt(1)
	v_lshl_add_u64 v[4:5], v[4:5], 3, s[42:43]
	v_lshl_add_u64 v[4:5], v[4:5], 0, v[16:17]
	s_waitcnt lgkmcnt(0)
	global_store_dwordx2 v[4:5], v[6:7], off
	s_or_b64 exec, exec, s[4:5]
	s_and_saveexec_b64 s[4:5], s[24:25]
	s_cbranch_execnz .LBB24_92
	s_branch .LBB24_93
.LBB24_87:
	s_or_b64 exec, exec, s[4:5]
	s_and_saveexec_b64 s[4:5], s[16:17]
	s_cbranch_execz .LBB24_83
.LBB24_88:
	v_lshlrev_b32_e32 v3, 3, v11
	ds_read_b64 v[4:5], v3
	ds_read_b64 v[6:7], v2 offset:8704
	v_mov_b32_e32 v11, 0
	s_waitcnt lgkmcnt(1)
	v_lshl_add_u64 v[4:5], v[4:5], 3, s[42:43]
	v_lshl_add_u64 v[4:5], v[4:5], 0, v[10:11]
	s_waitcnt lgkmcnt(0)
	global_store_dwordx2 v[4:5], v[6:7], off
	s_or_b64 exec, exec, s[4:5]
	s_and_saveexec_b64 s[4:5], s[18:19]
	s_cbranch_execnz .LBB24_84
.LBB24_89:
	s_or_b64 exec, exec, s[4:5]
	s_and_saveexec_b64 s[4:5], s[20:21]
	s_cbranch_execz .LBB24_85
.LBB24_90:
	v_lshlrev_b32_e32 v3, 3, v15
	ds_read_b64 v[4:5], v3
	ds_read_b64 v[6:7], v2 offset:25088
	v_mov_b32_e32 v15, 0
	s_waitcnt lgkmcnt(1)
	v_lshl_add_u64 v[4:5], v[4:5], 3, s[42:43]
	v_lshl_add_u64 v[4:5], v[4:5], 0, v[14:15]
	s_waitcnt lgkmcnt(0)
	global_store_dwordx2 v[4:5], v[6:7], off
	s_or_b64 exec, exec, s[4:5]
	s_and_saveexec_b64 s[4:5], s[22:23]
	s_cbranch_execnz .LBB24_86
.LBB24_91:
	s_or_b64 exec, exec, s[4:5]
	s_and_saveexec_b64 s[4:5], s[24:25]
	s_cbranch_execz .LBB24_93
.LBB24_92:
	v_lshlrev_b32_e32 v3, 3, v9
	ds_read_b64 v[4:5], v3
	ds_read_b64 v[6:7], v2 offset:41472
	v_mov_b32_e32 v9, 0
	s_waitcnt lgkmcnt(1)
	v_lshl_add_u64 v[4:5], v[4:5], 3, s[42:43]
	v_lshl_add_u64 v[4:5], v[4:5], 0, v[8:9]
	s_waitcnt lgkmcnt(0)
	global_store_dwordx2 v[4:5], v[6:7], off
.LBB24_93:
	s_or_b64 exec, exec, s[4:5]
	s_add_i32 s3, s3, -1
	s_cmp_eq_u32 s2, s3
	s_cselect_b64 s[4:5], -1, 0
	s_xor_b64 s[6:7], s[12:13], -1
	s_and_b64 s[6:7], s[6:7], s[4:5]
	s_and_saveexec_b64 s[4:5], s[6:7]
	s_cbranch_execz .LBB24_95
; %bb.94:
	ds_read_b64 v[4:5], v2
	v_mov_b32_e32 v25, 0
	v_lshl_add_u64 v[6:7], v[22:23], 0, v[24:25]
	s_waitcnt lgkmcnt(0)
	v_lshl_add_u64 v[4:5], v[6:7], 0, v[4:5]
	global_store_dwordx2 v2, v[4:5], s[30:31]
.LBB24_95:
	s_or_b64 exec, exec, s[4:5]
	s_mov_b64 s[4:5], 0
.LBB24_96:
	s_and_b64 vcc, exec, s[4:5]
	s_cbranch_vccz .LBB24_131
; %bb.97:
	s_mov_b32 s49, 0
	s_lshl_b64 s[12:13], s[48:49], 3
	s_add_u32 s4, s36, s12
	v_mbcnt_hi_u32_b32 v1, -1, v1
	v_and_b32_e32 v2, 0x3c0, v0
	v_mov_b32_e32 v21, 0
	s_addc_u32 s5, s37, s13
	v_mul_u32_u24_e32 v4, 6, v2
	v_lshlrev_b32_e32 v2, 3, v1
	v_mov_b32_e32 v3, v21
	v_lshl_add_u64 v[6:7], s[4:5], 0, v[2:3]
	v_lshlrev_b32_e32 v4, 3, v4
	v_mov_b32_e32 v5, v21
	v_lshl_add_u64 v[22:23], v[6:7], 0, v[4:5]
	global_load_dwordx2 v[8:9], v[22:23], off
	s_load_dword s4, s[0:1], 0x5c
	s_load_dword s3, s[0:1], 0x50
	s_add_u32 s0, s0, 0x50
	s_addc_u32 s1, s1, 0
	v_and_b32_e32 v6, 0x3ff, v0
	s_waitcnt lgkmcnt(0)
	s_lshr_b32 s4, s4, 16
	s_cmp_lt_u32 s2, s3
	s_cselect_b32 s5, 12, 18
	s_add_u32 s0, s0, s5
	s_addc_u32 s1, s1, 0
	global_load_ushort v3, v21, s[0:1]
	global_load_dwordx2 v[18:19], v[22:23], off offset:512
	global_load_dwordx2 v[16:17], v[22:23], off offset:1024
	;; [unrolled: 1-line block ×5, first 2 shown]
	v_bfe_u32 v5, v0, 10, 10
	v_bfe_u32 v7, v0, 20, 10
	s_lshl_b32 s0, -1, s45
	v_lshlrev_b32_e32 v0, 3, v6
	v_mov_b32_e32 v20, v21
	v_mad_u32_u24 v5, v7, s4, v5
	s_movk_i32 s15, 0x44
	ds_write_b64 v0, v[20:21] offset:64
	v_mov_b32_e32 v22, v21
	v_mov_b32_e32 v24, v21
	s_not_b32 s14, s0
	v_mov_b32_e32 v26, v21
	v_mov_b32_e32 v28, v21
	;; [unrolled: 1-line block ×3, first 2 shown]
	s_waitcnt lgkmcnt(0)
	s_barrier
	s_waitcnt vmcnt(6)
	; wave barrier
	v_lshrrev_b64 v[32:33], s44, v[8:9]
	v_bitop3_b32 v7, v32, s0, v32 bitop3:0x30
	v_and_b32_e32 v20, 1, v7
	v_lshlrev_b32_e32 v23, 30, v7
	v_mul_lo_u32 v34, v7, s15
	v_lshlrev_b32_e32 v25, 29, v7
	v_lshlrev_b32_e32 v27, 28, v7
	;; [unrolled: 1-line block ×4, first 2 shown]
	v_lshl_add_u64 v[32:33], v[20:21], 0, -1
	v_cmp_ne_u32_e32 vcc, 0, v20
	v_not_b32_e32 v7, v23
	v_cmp_gt_i64_e64 s[0:1], 0, v[22:23]
	v_cmp_gt_i64_e64 s[4:5], 0, v[24:25]
	v_not_b32_e32 v20, v25
	v_not_b32_e32 v24, v27
	;; [unrolled: 1-line block ×3, first 2 shown]
	s_waitcnt vmcnt(5)
	v_mad_u64_u32 v[22:23], s[16:17], v5, v3, v[6:7]
	v_xor_b32_e32 v5, vcc_lo, v32
	v_ashrrev_i32_e32 v7, 31, v7
	v_xor_b32_e32 v3, vcc_hi, v33
	v_ashrrev_i32_e32 v20, 31, v20
	v_ashrrev_i32_e32 v23, 31, v24
	;; [unrolled: 1-line block ×3, first 2 shown]
	v_and_b32_e32 v5, exec_lo, v5
	v_xor_b32_e32 v25, s1, v7
	v_xor_b32_e32 v7, s0, v7
	v_cmp_gt_i64_e64 s[6:7], 0, v[26:27]
	v_and_b32_e32 v3, exec_hi, v3
	v_xor_b32_e32 v26, s5, v20
	v_xor_b32_e32 v20, s4, v20
	v_and_b32_e32 v5, v5, v7
	v_cmp_gt_i64_e64 s[8:9], 0, v[28:29]
	v_xor_b32_e32 v27, s7, v23
	v_xor_b32_e32 v23, s6, v23
	v_and_b32_e32 v3, v3, v25
	v_and_b32_e32 v5, v5, v20
	v_not_b32_e32 v7, v31
	v_cmp_gt_i64_e64 s[10:11], 0, v[30:31]
	v_xor_b32_e32 v28, s9, v24
	v_xor_b32_e32 v24, s8, v24
	v_and_b32_e32 v3, v3, v26
	v_and_b32_e32 v5, v5, v23
	v_ashrrev_i32_e32 v7, 31, v7
	v_lshrrev_b32_e32 v22, 4, v22
	v_and_b32_e32 v3, v3, v27
	v_and_b32_e32 v5, v5, v24
	v_xor_b32_e32 v20, s11, v7
	v_xor_b32_e32 v7, s10, v7
	v_and_b32_e32 v30, 0xffffffc, v22
	v_and_b32_e32 v3, v3, v28
	;; [unrolled: 1-line block ×4, first 2 shown]
	v_mbcnt_lo_u32_b32 v3, v22, 0
	v_mbcnt_hi_u32_b32 v3, v23, v3
	v_cmp_eq_u32_e32 vcc, 0, v3
	v_cmp_ne_u64_e64 s[0:1], 0, v[22:23]
	s_and_b64 s[4:5], s[0:1], vcc
	v_add_u32_e32 v7, v30, v34
	s_and_saveexec_b64 s[0:1], s[4:5]
; %bb.98:
	v_bcnt_u32_b32 v5, v22, 0
	v_bcnt_u32_b32 v5, v23, v5
	ds_write_b32 v7, v5 offset:64
; %bb.99:
	s_or_b64 exec, exec, s[0:1]
	s_waitcnt vmcnt(4)
	v_lshrrev_b64 v[22:23], s44, v[18:19]
	v_and_b32_e32 v25, s14, v22
	v_and_b32_e32 v20, 1, v25
	v_lshl_add_u64 v[22:23], v[20:21], 0, -1
	v_cmp_ne_u32_e32 vcc, 0, v20
	v_mul_lo_u32 v5, v25, s15
	v_add_u32_e32 v24, v30, v5
	v_xor_b32_e32 v22, vcc_lo, v22
	v_xor_b32_e32 v20, vcc_hi, v23
	v_and_b32_e32 v26, exec_lo, v22
	v_lshlrev_b32_e32 v23, 30, v25
	v_mov_b32_e32 v22, v21
	v_cmp_gt_i64_e32 vcc, 0, v[22:23]
	v_not_b32_e32 v22, v23
	v_ashrrev_i32_e32 v22, 31, v22
	v_and_b32_e32 v20, exec_hi, v20
	v_xor_b32_e32 v23, vcc_hi, v22
	v_xor_b32_e32 v22, vcc_lo, v22
	v_and_b32_e32 v20, v20, v23
	v_and_b32_e32 v26, v26, v22
	v_lshlrev_b32_e32 v23, 29, v25
	v_mov_b32_e32 v22, v21
	v_cmp_gt_i64_e32 vcc, 0, v[22:23]
	v_not_b32_e32 v22, v23
	v_ashrrev_i32_e32 v22, 31, v22
	v_xor_b32_e32 v23, vcc_hi, v22
	v_xor_b32_e32 v22, vcc_lo, v22
	v_and_b32_e32 v20, v20, v23
	v_and_b32_e32 v26, v26, v22
	v_lshlrev_b32_e32 v23, 28, v25
	v_mov_b32_e32 v22, v21
	v_cmp_gt_i64_e32 vcc, 0, v[22:23]
	v_not_b32_e32 v22, v23
	v_ashrrev_i32_e32 v22, 31, v22
	;; [unrolled: 9-line block ×3, first 2 shown]
	v_xor_b32_e32 v23, vcc_hi, v22
	v_xor_b32_e32 v22, vcc_lo, v22
	v_and_b32_e32 v20, v20, v23
	v_lshlrev_b32_e32 v23, 26, v25
	v_and_b32_e32 v26, v26, v22
	v_mov_b32_e32 v22, v21
	v_not_b32_e32 v21, v23
	v_cmp_gt_i64_e32 vcc, 0, v[22:23]
	v_ashrrev_i32_e32 v21, 31, v21
	s_nop 0
	v_xor_b32_e32 v22, vcc_hi, v21
	v_xor_b32_e32 v23, vcc_lo, v21
	; wave barrier
	ds_read_b32 v5, v24 offset:64
	v_and_b32_e32 v21, v20, v22
	v_and_b32_e32 v20, v26, v23
	v_mbcnt_lo_u32_b32 v22, v20, 0
	v_mbcnt_hi_u32_b32 v25, v21, v22
	v_cmp_eq_u32_e32 vcc, 0, v25
	v_cmp_ne_u64_e64 s[0:1], 0, v[20:21]
	s_and_b64 s[4:5], s[0:1], vcc
	; wave barrier
	s_and_saveexec_b64 s[0:1], s[4:5]
	s_cbranch_execz .LBB24_101
; %bb.100:
	v_bcnt_u32_b32 v20, v20, 0
	v_bcnt_u32_b32 v20, v21, v20
	s_waitcnt lgkmcnt(0)
	v_add_u32_e32 v20, v5, v20
	ds_write_b32 v24, v20 offset:64
.LBB24_101:
	s_or_b64 exec, exec, s[0:1]
	s_waitcnt vmcnt(3)
	v_lshrrev_b64 v[20:21], s44, v[16:17]
	v_and_b32_e32 v28, s14, v20
	s_movk_i32 s4, 0x44
	v_mul_lo_u32 v20, v28, s4
	v_add_u32_e32 v27, v30, v20
	v_and_b32_e32 v20, 1, v28
	v_mov_b32_e32 v21, 0
	v_lshl_add_u64 v[22:23], v[20:21], 0, -1
	v_cmp_ne_u32_e32 vcc, 0, v20
	; wave barrier
	s_nop 1
	v_xor_b32_e32 v22, vcc_lo, v22
	v_xor_b32_e32 v20, vcc_hi, v23
	v_and_b32_e32 v29, exec_lo, v22
	v_lshlrev_b32_e32 v23, 30, v28
	v_mov_b32_e32 v22, v21
	v_cmp_gt_i64_e32 vcc, 0, v[22:23]
	v_not_b32_e32 v22, v23
	v_ashrrev_i32_e32 v22, 31, v22
	v_and_b32_e32 v20, exec_hi, v20
	v_xor_b32_e32 v23, vcc_hi, v22
	v_xor_b32_e32 v22, vcc_lo, v22
	v_and_b32_e32 v20, v20, v23
	v_and_b32_e32 v29, v29, v22
	v_lshlrev_b32_e32 v23, 29, v28
	v_mov_b32_e32 v22, v21
	v_cmp_gt_i64_e32 vcc, 0, v[22:23]
	v_not_b32_e32 v22, v23
	v_ashrrev_i32_e32 v22, 31, v22
	v_xor_b32_e32 v23, vcc_hi, v22
	v_xor_b32_e32 v22, vcc_lo, v22
	v_and_b32_e32 v20, v20, v23
	v_and_b32_e32 v29, v29, v22
	v_lshlrev_b32_e32 v23, 28, v28
	v_mov_b32_e32 v22, v21
	v_cmp_gt_i64_e32 vcc, 0, v[22:23]
	v_not_b32_e32 v22, v23
	v_ashrrev_i32_e32 v22, 31, v22
	;; [unrolled: 9-line block ×4, first 2 shown]
	v_xor_b32_e32 v23, vcc_hi, v22
	v_xor_b32_e32 v22, vcc_lo, v22
	ds_read_b32 v26, v27 offset:64
	v_and_b32_e32 v22, v29, v22
	v_and_b32_e32 v23, v20, v23
	v_mbcnt_lo_u32_b32 v20, v22, 0
	v_mbcnt_hi_u32_b32 v28, v23, v20
	v_cmp_eq_u32_e32 vcc, 0, v28
	v_cmp_ne_u64_e64 s[0:1], 0, v[22:23]
	s_and_b64 s[6:7], s[0:1], vcc
	; wave barrier
	s_and_saveexec_b64 s[0:1], s[6:7]
	s_cbranch_execz .LBB24_103
; %bb.102:
	v_bcnt_u32_b32 v20, v22, 0
	v_bcnt_u32_b32 v20, v23, v20
	s_waitcnt lgkmcnt(0)
	v_add_u32_e32 v20, v26, v20
	ds_write_b32 v27, v20 offset:64
.LBB24_103:
	s_or_b64 exec, exec, s[0:1]
	s_waitcnt vmcnt(2)
	v_lshrrev_b64 v[22:23], s44, v[14:15]
	v_and_b32_e32 v32, s14, v22
	v_mul_lo_u32 v20, v32, s4
	v_add_u32_e32 v31, v30, v20
	v_and_b32_e32 v20, 1, v32
	v_lshl_add_u64 v[22:23], v[20:21], 0, -1
	v_cmp_ne_u32_e32 vcc, 0, v20
	; wave barrier
	s_nop 1
	v_xor_b32_e32 v22, vcc_lo, v22
	v_xor_b32_e32 v20, vcc_hi, v23
	v_and_b32_e32 v33, exec_lo, v22
	v_lshlrev_b32_e32 v23, 30, v32
	v_mov_b32_e32 v22, v21
	v_cmp_gt_i64_e32 vcc, 0, v[22:23]
	v_not_b32_e32 v22, v23
	v_ashrrev_i32_e32 v22, 31, v22
	v_and_b32_e32 v20, exec_hi, v20
	v_xor_b32_e32 v23, vcc_hi, v22
	v_xor_b32_e32 v22, vcc_lo, v22
	v_and_b32_e32 v20, v20, v23
	v_and_b32_e32 v33, v33, v22
	v_lshlrev_b32_e32 v23, 29, v32
	v_mov_b32_e32 v22, v21
	v_cmp_gt_i64_e32 vcc, 0, v[22:23]
	v_not_b32_e32 v22, v23
	v_ashrrev_i32_e32 v22, 31, v22
	v_xor_b32_e32 v23, vcc_hi, v22
	v_xor_b32_e32 v22, vcc_lo, v22
	v_and_b32_e32 v20, v20, v23
	v_and_b32_e32 v33, v33, v22
	v_lshlrev_b32_e32 v23, 28, v32
	v_mov_b32_e32 v22, v21
	v_cmp_gt_i64_e32 vcc, 0, v[22:23]
	v_not_b32_e32 v22, v23
	v_ashrrev_i32_e32 v22, 31, v22
	;; [unrolled: 9-line block ×3, first 2 shown]
	v_xor_b32_e32 v23, vcc_hi, v22
	v_xor_b32_e32 v22, vcc_lo, v22
	v_and_b32_e32 v20, v20, v23
	v_lshlrev_b32_e32 v23, 26, v32
	v_and_b32_e32 v33, v33, v22
	v_mov_b32_e32 v22, v21
	v_not_b32_e32 v21, v23
	v_cmp_gt_i64_e32 vcc, 0, v[22:23]
	v_ashrrev_i32_e32 v21, 31, v21
	ds_read_b32 v29, v31 offset:64
	v_xor_b32_e32 v22, vcc_hi, v21
	v_xor_b32_e32 v23, vcc_lo, v21
	v_and_b32_e32 v21, v20, v22
	v_and_b32_e32 v20, v33, v23
	v_mbcnt_lo_u32_b32 v22, v20, 0
	v_mbcnt_hi_u32_b32 v32, v21, v22
	v_cmp_eq_u32_e32 vcc, 0, v32
	v_cmp_ne_u64_e64 s[0:1], 0, v[20:21]
	s_and_b64 s[4:5], s[0:1], vcc
	; wave barrier
	s_and_saveexec_b64 s[0:1], s[4:5]
	s_cbranch_execz .LBB24_105
; %bb.104:
	v_bcnt_u32_b32 v20, v20, 0
	v_bcnt_u32_b32 v20, v21, v20
	s_waitcnt lgkmcnt(0)
	v_add_u32_e32 v20, v29, v20
	ds_write_b32 v31, v20 offset:64
.LBB24_105:
	s_or_b64 exec, exec, s[0:1]
	s_waitcnt vmcnt(1)
	v_lshrrev_b64 v[20:21], s44, v[12:13]
	v_and_b32_e32 v35, s14, v20
	s_movk_i32 s4, 0x44
	v_mul_lo_u32 v20, v35, s4
	v_add_u32_e32 v34, v30, v20
	v_and_b32_e32 v20, 1, v35
	v_mov_b32_e32 v21, 0
	v_lshl_add_u64 v[22:23], v[20:21], 0, -1
	v_cmp_ne_u32_e32 vcc, 0, v20
	; wave barrier
	s_nop 1
	v_xor_b32_e32 v22, vcc_lo, v22
	v_xor_b32_e32 v20, vcc_hi, v23
	v_and_b32_e32 v36, exec_lo, v22
	v_lshlrev_b32_e32 v23, 30, v35
	v_mov_b32_e32 v22, v21
	v_cmp_gt_i64_e32 vcc, 0, v[22:23]
	v_not_b32_e32 v22, v23
	v_ashrrev_i32_e32 v22, 31, v22
	v_and_b32_e32 v20, exec_hi, v20
	v_xor_b32_e32 v23, vcc_hi, v22
	v_xor_b32_e32 v22, vcc_lo, v22
	v_and_b32_e32 v20, v20, v23
	v_and_b32_e32 v36, v36, v22
	v_lshlrev_b32_e32 v23, 29, v35
	v_mov_b32_e32 v22, v21
	v_cmp_gt_i64_e32 vcc, 0, v[22:23]
	v_not_b32_e32 v22, v23
	v_ashrrev_i32_e32 v22, 31, v22
	v_xor_b32_e32 v23, vcc_hi, v22
	v_xor_b32_e32 v22, vcc_lo, v22
	v_and_b32_e32 v20, v20, v23
	v_and_b32_e32 v36, v36, v22
	v_lshlrev_b32_e32 v23, 28, v35
	v_mov_b32_e32 v22, v21
	v_cmp_gt_i64_e32 vcc, 0, v[22:23]
	v_not_b32_e32 v22, v23
	v_ashrrev_i32_e32 v22, 31, v22
	v_xor_b32_e32 v23, vcc_hi, v22
	v_xor_b32_e32 v22, vcc_lo, v22
	v_and_b32_e32 v20, v20, v23
	v_and_b32_e32 v36, v36, v22
	v_lshlrev_b32_e32 v23, 27, v35
	v_mov_b32_e32 v22, v21
	v_cmp_gt_i64_e32 vcc, 0, v[22:23]
	v_not_b32_e32 v22, v23
	v_ashrrev_i32_e32 v22, 31, v22
	v_xor_b32_e32 v23, vcc_hi, v22
	v_xor_b32_e32 v22, vcc_lo, v22
	v_and_b32_e32 v20, v20, v23
	v_and_b32_e32 v36, v36, v22
	v_lshlrev_b32_e32 v23, 26, v35
	v_mov_b32_e32 v22, v21
	v_cmp_gt_i64_e32 vcc, 0, v[22:23]
	v_not_b32_e32 v22, v23
	v_ashrrev_i32_e32 v22, 31, v22
	v_xor_b32_e32 v23, vcc_hi, v22
	v_xor_b32_e32 v22, vcc_lo, v22
	ds_read_b32 v33, v34 offset:64
	v_and_b32_e32 v22, v36, v22
	v_and_b32_e32 v23, v20, v23
	v_mbcnt_lo_u32_b32 v20, v22, 0
	v_mbcnt_hi_u32_b32 v35, v23, v20
	v_cmp_eq_u32_e32 vcc, 0, v35
	v_cmp_ne_u64_e64 s[0:1], 0, v[22:23]
	s_and_b64 s[6:7], s[0:1], vcc
	; wave barrier
	s_and_saveexec_b64 s[0:1], s[6:7]
	s_cbranch_execz .LBB24_107
; %bb.106:
	v_bcnt_u32_b32 v20, v22, 0
	v_bcnt_u32_b32 v20, v23, v20
	s_waitcnt lgkmcnt(0)
	v_add_u32_e32 v20, v33, v20
	ds_write_b32 v34, v20 offset:64
.LBB24_107:
	s_or_b64 exec, exec, s[0:1]
	s_waitcnt vmcnt(0)
	v_lshrrev_b64 v[22:23], s44, v[10:11]
	v_and_b32_e32 v38, s14, v22
	v_mul_lo_u32 v20, v38, s4
	v_add_u32_e32 v22, v30, v20
	v_and_b32_e32 v20, 1, v38
	v_lshl_add_u64 v[36:37], v[20:21], 0, -1
	v_cmp_ne_u32_e32 vcc, 0, v20
	; wave barrier
	s_nop 1
	v_xor_b32_e32 v20, vcc_hi, v37
	v_xor_b32_e32 v30, vcc_lo, v36
	v_lshlrev_b32_e32 v37, 30, v38
	v_mov_b32_e32 v36, v21
	v_cmp_gt_i64_e32 vcc, 0, v[36:37]
	v_not_b32_e32 v36, v37
	v_ashrrev_i32_e32 v36, 31, v36
	v_and_b32_e32 v20, exec_hi, v20
	v_and_b32_e32 v30, exec_lo, v30
	v_xor_b32_e32 v37, vcc_hi, v36
	v_xor_b32_e32 v36, vcc_lo, v36
	v_and_b32_e32 v20, v20, v37
	v_and_b32_e32 v30, v30, v36
	v_lshlrev_b32_e32 v37, 29, v38
	v_mov_b32_e32 v36, v21
	v_cmp_gt_i64_e32 vcc, 0, v[36:37]
	v_not_b32_e32 v36, v37
	v_ashrrev_i32_e32 v36, 31, v36
	v_xor_b32_e32 v37, vcc_hi, v36
	v_xor_b32_e32 v36, vcc_lo, v36
	v_and_b32_e32 v20, v20, v37
	v_and_b32_e32 v30, v30, v36
	v_lshlrev_b32_e32 v37, 28, v38
	v_mov_b32_e32 v36, v21
	v_cmp_gt_i64_e32 vcc, 0, v[36:37]
	v_not_b32_e32 v36, v37
	v_ashrrev_i32_e32 v36, 31, v36
	;; [unrolled: 9-line block ×3, first 2 shown]
	v_xor_b32_e32 v37, vcc_hi, v36
	v_xor_b32_e32 v36, vcc_lo, v36
	v_and_b32_e32 v20, v20, v37
	v_lshlrev_b32_e32 v37, 26, v38
	v_and_b32_e32 v30, v30, v36
	v_mov_b32_e32 v36, v21
	v_not_b32_e32 v21, v37
	v_cmp_gt_i64_e32 vcc, 0, v[36:37]
	v_ashrrev_i32_e32 v21, 31, v21
	ds_read_b32 v23, v22 offset:64
	v_xor_b32_e32 v36, vcc_hi, v21
	v_xor_b32_e32 v37, vcc_lo, v21
	v_and_b32_e32 v21, v20, v36
	v_and_b32_e32 v20, v30, v37
	v_mbcnt_lo_u32_b32 v30, v20, 0
	v_mbcnt_hi_u32_b32 v30, v21, v30
	v_cmp_eq_u32_e32 vcc, 0, v30
	v_cmp_ne_u64_e64 s[0:1], 0, v[20:21]
	s_and_b64 s[4:5], s[0:1], vcc
	; wave barrier
	s_and_saveexec_b64 s[0:1], s[4:5]
	s_cbranch_execz .LBB24_109
; %bb.108:
	v_bcnt_u32_b32 v20, v20, 0
	v_bcnt_u32_b32 v20, v21, v20
	s_waitcnt lgkmcnt(0)
	v_add_u32_e32 v20, v23, v20
	ds_write_b32 v22, v20 offset:64
.LBB24_109:
	s_or_b64 exec, exec, s[0:1]
	; wave barrier
	s_waitcnt lgkmcnt(0)
	s_barrier
	ds_read_b64 v[20:21], v0 offset:64
	v_and_b32_e32 v36, 15, v1
	v_cmp_eq_u32_e32 vcc, 0, v36
	v_cmp_lt_u32_e64 s[0:1], 1, v36
	v_cmp_lt_u32_e64 s[6:7], 3, v36
	s_waitcnt lgkmcnt(0)
	v_add_u32_e32 v21, v21, v20
	v_cmp_lt_u32_e64 s[4:5], 7, v36
	v_cmp_lt_u32_e64 s[8:9], 31, v1
	v_mov_b32_dpp v37, v21 row_shr:1 row_mask:0xf bank_mask:0xf
	v_cndmask_b32_e64 v37, v37, 0, vcc
	v_add_u32_e32 v21, v37, v21
	s_nop 1
	v_mov_b32_dpp v37, v21 row_shr:2 row_mask:0xf bank_mask:0xf
	v_cndmask_b32_e64 v37, 0, v37, s[0:1]
	v_add_u32_e32 v21, v21, v37
	s_nop 1
	v_mov_b32_dpp v37, v21 row_shr:4 row_mask:0xf bank_mask:0xf
	v_cndmask_b32_e64 v37, 0, v37, s[6:7]
	;; [unrolled: 4-line block ×3, first 2 shown]
	v_add_u32_e32 v21, v21, v36
	v_bfe_i32 v37, v1, 4, 1
	s_nop 0
	v_mov_b32_dpp v36, v21 row_bcast:15 row_mask:0xf bank_mask:0xf
	v_and_b32_e32 v36, v37, v36
	v_add_u32_e32 v21, v21, v36
	v_and_b32_e32 v37, 63, v6
	s_nop 0
	v_mov_b32_dpp v36, v21 row_bcast:31 row_mask:0xf bank_mask:0xf
	v_cndmask_b32_e64 v36, 0, v36, s[8:9]
	v_add_u32_e32 v21, v21, v36
	v_lshrrev_b32_e32 v36, 6, v6
	v_cmp_eq_u32_e64 s[8:9], 63, v37
	s_and_saveexec_b64 s[10:11], s[8:9]
; %bb.110:
	v_lshlrev_b32_e32 v37, 2, v36
	ds_write_b32 v37, v21
; %bb.111:
	s_or_b64 exec, exec, s[10:11]
	v_cmp_gt_u32_e64 s[8:9], 16, v6
	s_waitcnt lgkmcnt(0)
	s_barrier
	s_and_saveexec_b64 s[10:11], s[8:9]
	s_cbranch_execz .LBB24_113
; %bb.112:
	v_lshlrev_b32_e32 v37, 2, v6
	ds_read_b32 v38, v37
	s_waitcnt lgkmcnt(0)
	s_nop 0
	v_mov_b32_dpp v39, v38 row_shr:1 row_mask:0xf bank_mask:0xf
	v_cndmask_b32_e64 v39, v39, 0, vcc
	v_add_u32_e32 v38, v39, v38
	s_nop 1
	v_mov_b32_dpp v39, v38 row_shr:2 row_mask:0xf bank_mask:0xf
	v_cndmask_b32_e64 v39, 0, v39, s[0:1]
	v_add_u32_e32 v38, v38, v39
	s_nop 1
	v_mov_b32_dpp v39, v38 row_shr:4 row_mask:0xf bank_mask:0xf
	v_cndmask_b32_e64 v39, 0, v39, s[6:7]
	v_add_u32_e32 v38, v38, v39
	s_nop 1
	v_mov_b32_dpp v39, v38 row_shr:8 row_mask:0xf bank_mask:0xf
	v_cndmask_b32_e64 v39, 0, v39, s[4:5]
	v_add_u32_e32 v38, v38, v39
	ds_write_b32 v37, v38
.LBB24_113:
	s_or_b64 exec, exec, s[10:11]
	v_cmp_gt_u32_e64 s[0:1], 64, v6
	v_cmp_lt_u32_e32 vcc, 63, v6
	v_mov_b32_e32 v37, 0
	s_waitcnt lgkmcnt(0)
	s_barrier
	s_and_saveexec_b64 s[4:5], vcc
; %bb.114:
	v_lshl_add_u32 v36, v36, 2, -4
	ds_read_b32 v37, v36
; %bb.115:
	s_or_b64 exec, exec, s[4:5]
	v_add_u32_e32 v36, -1, v1
	v_and_b32_e32 v38, 64, v1
	v_cmp_lt_i32_e64 s[4:5], v36, v38
	s_waitcnt lgkmcnt(0)
	v_add_u32_e32 v21, v37, v21
	v_cndmask_b32_e64 v36, v36, v1, s[4:5]
	v_lshlrev_b32_e32 v36, 2, v36
	ds_bpermute_b32 v21, v36, v21
	v_cmp_eq_u32_e64 s[4:5], 0, v1
	s_waitcnt lgkmcnt(0)
	s_nop 0
	v_cndmask_b32_e64 v1, v21, v37, s[4:5]
	v_cmp_ne_u32_e64 s[4:5], 0, v6
	s_nop 1
	v_cndmask_b32_e64 v36, 0, v1, s[4:5]
	v_add_u32_e32 v37, v36, v20
	ds_write_b64 v0, v[36:37] offset:64
	s_waitcnt lgkmcnt(0)
	s_barrier
	ds_read_b32 v7, v7 offset:64
	ds_read_b32 v24, v24 offset:64
	;; [unrolled: 1-line block ×6, first 2 shown]
	v_mov_b64_e32 v[20:21], 0
                                        ; implicit-def: $vgpr22
	s_and_saveexec_b64 s[6:7], s[0:1]
	s_cbranch_execz .LBB24_119
; %bb.116:
	v_mul_u32_u24_e32 v20, 0x44, v6
	ds_read_b32 v20, v20 offset:64
	v_add_u32_e32 v22, 1, v6
	v_cmp_ne_u32_e64 s[4:5], 64, v22
	v_mov_b32_e32 v21, 0x1800
	s_and_saveexec_b64 s[8:9], s[4:5]
; %bb.117:
	v_mul_u32_u24_e32 v21, 0x44, v22
	ds_read_b32 v21, v21 offset:64
; %bb.118:
	s_or_b64 exec, exec, s[8:9]
	s_waitcnt lgkmcnt(0)
	v_sub_u32_e32 v22, v21, v20
	v_mov_b32_e32 v21, 0
.LBB24_119:
	s_or_b64 exec, exec, s[6:7]
	v_lshlrev_b32_e32 v3, 3, v3
	s_waitcnt lgkmcnt(5)
	v_lshl_add_u32 v7, v7, 3, v3
	s_waitcnt lgkmcnt(0)
	s_barrier
	ds_write_b64 v7, v[8:9] offset:512
	v_lshlrev_b32_e32 v3, 3, v25
	v_lshlrev_b32_e32 v5, 3, v5
	;; [unrolled: 1-line block ×3, first 2 shown]
	v_add3_u32 v24, v3, v5, v8
	v_lshlrev_b32_e32 v3, 3, v28
	v_lshlrev_b32_e32 v5, 3, v26
	v_lshlrev_b32_e32 v8, 3, v36
	ds_write_b64 v24, v[18:19] offset:512
	v_add3_u32 v18, v3, v5, v8
	v_lshlrev_b32_e32 v3, 3, v32
	v_lshlrev_b32_e32 v5, 3, v29
	v_lshlrev_b32_e32 v8, 3, v31
	ds_write_b64 v18, v[16:17] offset:512
	;; [unrolled: 5-line block ×3, first 2 shown]
	v_add3_u32 v14, v3, v5, v8
	v_lshlrev_b32_e32 v3, 3, v30
	v_lshlrev_b32_e32 v5, 3, v23
	;; [unrolled: 1-line block ×3, first 2 shown]
	v_add3_u32 v15, v3, v5, v1
	v_mov_b32_e32 v9, 0
	ds_write_b64 v14, v[12:13] offset:512
	ds_write_b64 v15, v[10:11] offset:512
	s_waitcnt lgkmcnt(0)
	s_barrier
	s_and_saveexec_b64 s[4:5], s[0:1]
	s_cbranch_execz .LBB24_129
; %bb.120:
	v_lshl_add_u32 v8, s2, 6, v6
	v_lshl_add_u64 v[10:11], v[8:9], 2, s[34:35]
	v_or_b32_e32 v1, 2.0, v22
	global_store_dword v[10:11], v1, off sc1
	s_mov_b64 s[6:7], 0
	s_brev_b32 s15, -4
	s_mov_b32 s16, s2
	v_mov_b32_e32 v1, 0
                                        ; implicit-def: $sgpr0_sgpr1
	s_branch .LBB24_123
.LBB24_121:                             ;   in Loop: Header=BB24_123 Depth=1
	s_or_b64 exec, exec, s[10:11]
.LBB24_122:                             ;   in Loop: Header=BB24_123 Depth=1
	s_or_b64 exec, exec, s[8:9]
	v_and_b32_e32 v5, 0x3fffffff, v3
	v_add_u32_e32 v1, v5, v1
	v_cmp_gt_i32_e64 s[0:1], -2.0, v3
	s_and_b64 s[8:9], exec, s[0:1]
	s_or_b64 s[6:7], s[8:9], s[6:7]
	s_andn2_b64 exec, exec, s[6:7]
	s_cbranch_execz .LBB24_128
.LBB24_123:                             ; =>This Loop Header: Depth=1
                                        ;     Child Loop BB24_126 Depth 2
	s_or_b64 s[0:1], s[0:1], exec
	s_cmp_eq_u32 s16, 0
	s_cbranch_scc1 .LBB24_127
; %bb.124:                              ;   in Loop: Header=BB24_123 Depth=1
	s_add_i32 s16, s16, -1
	v_lshl_or_b32 v8, s16, 6, v6
	v_lshl_add_u64 v[12:13], v[8:9], 2, s[34:35]
	global_load_dword v3, v[12:13], off sc1
	s_waitcnt vmcnt(0)
	v_cmp_gt_u32_e64 s[0:1], 2.0, v3
	s_and_saveexec_b64 s[8:9], s[0:1]
	s_cbranch_execz .LBB24_122
; %bb.125:                              ;   in Loop: Header=BB24_123 Depth=1
	s_mov_b64 s[10:11], 0
.LBB24_126:                             ;   Parent Loop BB24_123 Depth=1
                                        ; =>  This Inner Loop Header: Depth=2
	global_load_dword v3, v[12:13], off sc1
	s_waitcnt vmcnt(0)
	v_cmp_lt_u32_e64 s[0:1], s15, v3
	s_or_b64 s[10:11], s[0:1], s[10:11]
	s_andn2_b64 exec, exec, s[10:11]
	s_cbranch_execnz .LBB24_126
	s_branch .LBB24_121
.LBB24_127:                             ;   in Loop: Header=BB24_123 Depth=1
                                        ; implicit-def: $sgpr16
	s_and_b64 s[8:9], exec, s[0:1]
	s_or_b64 s[6:7], s[8:9], s[6:7]
	s_andn2_b64 exec, exec, s[6:7]
	s_cbranch_execnz .LBB24_123
.LBB24_128:
	s_or_b64 exec, exec, s[6:7]
	v_add_u32_e32 v3, v1, v22
	v_or_b32_e32 v3, 0x80000000, v3
	global_store_dword v[10:11], v3, off sc1
	global_load_dwordx2 v[8:9], v0, s[28:29]
	v_sub_co_u32_e64 v10, s[0:1], v1, v20
	s_nop 1
	v_subb_co_u32_e64 v11, s[0:1], 0, v21, s[0:1]
	s_waitcnt vmcnt(0)
	v_lshl_add_u64 v[8:9], v[10:11], 0, v[8:9]
	ds_write_b64 v0, v[8:9]
.LBB24_129:
	s_or_b64 exec, exec, s[4:5]
	s_waitcnt lgkmcnt(0)
	s_barrier
	ds_read2st64_b64 v[8:11], v0 offset0:1 offset1:17
	ds_read2st64_b64 v[26:29], v0 offset0:33 offset1:49
	s_add_u32 s0, s40, s12
	s_addc_u32 s1, s41, s13
	s_add_i32 s3, s3, -1
	s_waitcnt lgkmcnt(1)
	v_lshrrev_b64 v[12:13], s44, v[8:9]
	v_and_b32_e32 v1, s14, v12
	v_lshlrev_b32_e32 v17, 3, v1
	ds_read_b64 v[12:13], v17
	v_lshrrev_b64 v[30:31], s44, v[10:11]
	v_and_b32_e32 v1, s14, v30
	s_waitcnt lgkmcnt(1)
	v_lshrrev_b64 v[30:31], s44, v[26:27]
	v_lshlrev_b32_e32 v19, 3, v1
	v_and_b32_e32 v1, s14, v30
	v_lshrrev_b64 v[30:31], s44, v[28:29]
	v_lshlrev_b32_e32 v23, 3, v1
	v_and_b32_e32 v1, s14, v30
	v_lshlrev_b32_e32 v25, 3, v1
	ds_read_b64 v[30:31], v19
	ds_read_b64 v[32:33], v23
	;; [unrolled: 1-line block ×3, first 2 shown]
	s_waitcnt lgkmcnt(3)
	v_lshl_add_u64 v[12:13], v[12:13], 3, s[38:39]
	v_mov_b32_e32 v1, 0
	v_lshl_add_u64 v[12:13], v[12:13], 0, v[0:1]
	global_store_dwordx2 v[12:13], v[8:9], off
	s_waitcnt lgkmcnt(2)
	v_lshl_add_u64 v[8:9], v[30:31], 3, s[38:39]
	v_or_b32_e32 v30, 0x2000, v0
	v_mov_b32_e32 v31, v1
	v_lshl_add_u64 v[8:9], v[8:9], 0, v[30:31]
	global_store_dwordx2 v[8:9], v[10:11], off
	s_waitcnt lgkmcnt(1)
	v_lshl_add_u64 v[8:9], v[32:33], 3, s[38:39]
	v_or_b32_e32 v32, 0x4000, v0
	v_mov_b32_e32 v33, v1
	v_lshl_add_u64 v[8:9], v[8:9], 0, v[32:33]
	global_store_dwordx2 v[8:9], v[26:27], off
	ds_read2st64_b64 v[8:11], v0 offset0:65 offset1:81
	s_waitcnt lgkmcnt(1)
	v_lshl_add_u64 v[12:13], v[34:35], 3, s[38:39]
	v_or_b32_e32 v26, 0x6000, v0
	v_mov_b32_e32 v27, v1
	v_lshl_add_u64 v[12:13], v[12:13], 0, v[26:27]
	global_store_dwordx2 v[12:13], v[28:29], off
	s_waitcnt lgkmcnt(0)
	v_lshrrev_b64 v[12:13], s44, v[8:9]
	v_and_b32_e32 v3, s14, v12
	v_lshlrev_b32_e32 v40, 3, v3
	v_lshrrev_b64 v[28:29], s44, v[10:11]
	ds_read_b64 v[12:13], v40
	v_and_b32_e32 v3, s14, v28
	v_lshlrev_b32_e32 v41, 3, v3
	ds_read_b64 v[28:29], v41
	v_or_b32_e32 v34, 0x8000, v0
	s_waitcnt lgkmcnt(1)
	v_lshl_add_u64 v[12:13], v[12:13], 3, s[38:39]
	v_mov_b32_e32 v35, v1
	v_lshl_add_u64 v[12:13], v[12:13], 0, v[34:35]
	global_store_dwordx2 v[12:13], v[8:9], off
	s_waitcnt lgkmcnt(0)
	v_lshl_add_u64 v[8:9], v[28:29], 3, s[38:39]
	v_or_b32_e32 v28, 0xa000, v0
	v_mov_b32_e32 v29, v1
	v_mov_b32_e32 v3, v1
	v_lshl_add_u64 v[8:9], v[8:9], 0, v[28:29]
	v_lshl_add_u64 v[2:3], s[0:1], 0, v[2:3]
	v_mov_b32_e32 v5, v1
	global_store_dwordx2 v[8:9], v[10:11], off
	v_lshl_add_u64 v[2:3], v[2:3], 0, v[4:5]
	global_load_dwordx2 v[4:5], v[2:3], off
	global_load_dwordx2 v[8:9], v[2:3], off offset:512
	global_load_dwordx2 v[10:11], v[2:3], off offset:1024
	;; [unrolled: 1-line block ×5, first 2 shown]
	s_barrier
	s_cmp_eq_u32 s2, s3
	s_cselect_b64 s[0:1], -1, 0
	s_xor_b64 s[2:3], vcc, -1
	s_and_b64 s[0:1], s[2:3], s[0:1]
	s_waitcnt vmcnt(5)
	ds_write_b64 v7, v[4:5] offset:512
	s_waitcnt vmcnt(4)
	ds_write_b64 v24, v[8:9] offset:512
	;; [unrolled: 2-line block ×6, first 2 shown]
	s_waitcnt lgkmcnt(0)
	s_barrier
	ds_read2st64_b64 v[2:5], v0 offset0:1 offset1:17
	ds_read2st64_b64 v[6:9], v0 offset0:33 offset1:49
	ds_read_b64 v[14:15], v17
	ds_read_b64 v[16:17], v19
	;; [unrolled: 1-line block ×4, first 2 shown]
	ds_read2st64_b64 v[10:13], v0 offset0:65 offset1:81
	ds_read_b64 v[36:37], v40
	ds_read_b64 v[38:39], v41
	s_waitcnt lgkmcnt(6)
	v_lshl_add_u64 v[14:15], v[14:15], 3, s[42:43]
	s_waitcnt lgkmcnt(5)
	v_lshl_add_u64 v[16:17], v[16:17], 3, s[42:43]
	s_waitcnt lgkmcnt(4)
	v_lshl_add_u64 v[18:19], v[18:19], 3, s[42:43]
	s_waitcnt lgkmcnt(3)
	v_lshl_add_u64 v[24:25], v[24:25], 3, s[42:43]
	v_lshl_add_u64 v[14:15], v[14:15], 0, v[0:1]
	v_lshl_add_u64 v[16:17], v[16:17], 0, v[30:31]
	;; [unrolled: 1-line block ×4, first 2 shown]
	global_store_dwordx2 v[14:15], v[2:3], off
	global_store_dwordx2 v[16:17], v[4:5], off
	;; [unrolled: 1-line block ×4, first 2 shown]
	s_waitcnt lgkmcnt(1)
	v_lshl_add_u64 v[2:3], v[36:37], 3, s[42:43]
	v_lshl_add_u64 v[2:3], v[2:3], 0, v[34:35]
	global_store_dwordx2 v[2:3], v[10:11], off
	s_waitcnt lgkmcnt(0)
	v_lshl_add_u64 v[2:3], v[38:39], 3, s[42:43]
	v_lshl_add_u64 v[2:3], v[2:3], 0, v[28:29]
	global_store_dwordx2 v[2:3], v[12:13], off
	s_and_saveexec_b64 s[2:3], s[0:1]
	s_cbranch_execz .LBB24_131
; %bb.130:
	ds_read_b64 v[2:3], v0
	v_mov_b32_e32 v23, v1
	v_lshl_add_u64 v[4:5], v[20:21], 0, v[22:23]
	s_waitcnt lgkmcnt(0)
	v_lshl_add_u64 v[2:3], v[4:5], 0, v[2:3]
	global_store_dwordx2 v0, v[2:3], s[30:31]
.LBB24_131:
	s_endpgm
	.section	.rodata,"a",@progbits
	.p2align	6, 0x0
	.amdhsa_kernel _ZN7rocprim17ROCPRIM_304000_NS6detail25onesweep_iteration_kernelINS1_34wrapped_radix_sort_onesweep_configINS0_14default_configEmN2at4cuda3cub6detail10OpaqueTypeILi8EEEEELb0EPKmPmPKSA_PSA_mNS0_19identity_decomposerEEEvT1_T2_T3_T4_jPT5_SO_PNS1_23onesweep_lookback_stateET6_jjj
		.amdhsa_group_segment_fixed_size 49664
		.amdhsa_private_segment_fixed_size 0
		.amdhsa_kernarg_size 336
		.amdhsa_user_sgpr_count 2
		.amdhsa_user_sgpr_dispatch_ptr 0
		.amdhsa_user_sgpr_queue_ptr 0
		.amdhsa_user_sgpr_kernarg_segment_ptr 1
		.amdhsa_user_sgpr_dispatch_id 0
		.amdhsa_user_sgpr_kernarg_preload_length 0
		.amdhsa_user_sgpr_kernarg_preload_offset 0
		.amdhsa_user_sgpr_private_segment_size 0
		.amdhsa_uses_dynamic_stack 0
		.amdhsa_enable_private_segment 0
		.amdhsa_system_sgpr_workgroup_id_x 1
		.amdhsa_system_sgpr_workgroup_id_y 0
		.amdhsa_system_sgpr_workgroup_id_z 0
		.amdhsa_system_sgpr_workgroup_info 0
		.amdhsa_system_vgpr_workitem_id 2
		.amdhsa_next_free_vgpr 42
		.amdhsa_next_free_sgpr 52
		.amdhsa_accum_offset 44
		.amdhsa_reserve_vcc 1
		.amdhsa_float_round_mode_32 0
		.amdhsa_float_round_mode_16_64 0
		.amdhsa_float_denorm_mode_32 3
		.amdhsa_float_denorm_mode_16_64 3
		.amdhsa_dx10_clamp 1
		.amdhsa_ieee_mode 1
		.amdhsa_fp16_overflow 0
		.amdhsa_tg_split 0
		.amdhsa_exception_fp_ieee_invalid_op 0
		.amdhsa_exception_fp_denorm_src 0
		.amdhsa_exception_fp_ieee_div_zero 0
		.amdhsa_exception_fp_ieee_overflow 0
		.amdhsa_exception_fp_ieee_underflow 0
		.amdhsa_exception_fp_ieee_inexact 0
		.amdhsa_exception_int_div_zero 0
	.end_amdhsa_kernel
	.section	.text._ZN7rocprim17ROCPRIM_304000_NS6detail25onesweep_iteration_kernelINS1_34wrapped_radix_sort_onesweep_configINS0_14default_configEmN2at4cuda3cub6detail10OpaqueTypeILi8EEEEELb0EPKmPmPKSA_PSA_mNS0_19identity_decomposerEEEvT1_T2_T3_T4_jPT5_SO_PNS1_23onesweep_lookback_stateET6_jjj,"axG",@progbits,_ZN7rocprim17ROCPRIM_304000_NS6detail25onesweep_iteration_kernelINS1_34wrapped_radix_sort_onesweep_configINS0_14default_configEmN2at4cuda3cub6detail10OpaqueTypeILi8EEEEELb0EPKmPmPKSA_PSA_mNS0_19identity_decomposerEEEvT1_T2_T3_T4_jPT5_SO_PNS1_23onesweep_lookback_stateET6_jjj,comdat
.Lfunc_end24:
	.size	_ZN7rocprim17ROCPRIM_304000_NS6detail25onesweep_iteration_kernelINS1_34wrapped_radix_sort_onesweep_configINS0_14default_configEmN2at4cuda3cub6detail10OpaqueTypeILi8EEEEELb0EPKmPmPKSA_PSA_mNS0_19identity_decomposerEEEvT1_T2_T3_T4_jPT5_SO_PNS1_23onesweep_lookback_stateET6_jjj, .Lfunc_end24-_ZN7rocprim17ROCPRIM_304000_NS6detail25onesweep_iteration_kernelINS1_34wrapped_radix_sort_onesweep_configINS0_14default_configEmN2at4cuda3cub6detail10OpaqueTypeILi8EEEEELb0EPKmPmPKSA_PSA_mNS0_19identity_decomposerEEEvT1_T2_T3_T4_jPT5_SO_PNS1_23onesweep_lookback_stateET6_jjj
                                        ; -- End function
	.set _ZN7rocprim17ROCPRIM_304000_NS6detail25onesweep_iteration_kernelINS1_34wrapped_radix_sort_onesweep_configINS0_14default_configEmN2at4cuda3cub6detail10OpaqueTypeILi8EEEEELb0EPKmPmPKSA_PSA_mNS0_19identity_decomposerEEEvT1_T2_T3_T4_jPT5_SO_PNS1_23onesweep_lookback_stateET6_jjj.num_vgpr, 42
	.set _ZN7rocprim17ROCPRIM_304000_NS6detail25onesweep_iteration_kernelINS1_34wrapped_radix_sort_onesweep_configINS0_14default_configEmN2at4cuda3cub6detail10OpaqueTypeILi8EEEEELb0EPKmPmPKSA_PSA_mNS0_19identity_decomposerEEEvT1_T2_T3_T4_jPT5_SO_PNS1_23onesweep_lookback_stateET6_jjj.num_agpr, 0
	.set _ZN7rocprim17ROCPRIM_304000_NS6detail25onesweep_iteration_kernelINS1_34wrapped_radix_sort_onesweep_configINS0_14default_configEmN2at4cuda3cub6detail10OpaqueTypeILi8EEEEELb0EPKmPmPKSA_PSA_mNS0_19identity_decomposerEEEvT1_T2_T3_T4_jPT5_SO_PNS1_23onesweep_lookback_stateET6_jjj.numbered_sgpr, 52
	.set _ZN7rocprim17ROCPRIM_304000_NS6detail25onesweep_iteration_kernelINS1_34wrapped_radix_sort_onesweep_configINS0_14default_configEmN2at4cuda3cub6detail10OpaqueTypeILi8EEEEELb0EPKmPmPKSA_PSA_mNS0_19identity_decomposerEEEvT1_T2_T3_T4_jPT5_SO_PNS1_23onesweep_lookback_stateET6_jjj.num_named_barrier, 0
	.set _ZN7rocprim17ROCPRIM_304000_NS6detail25onesweep_iteration_kernelINS1_34wrapped_radix_sort_onesweep_configINS0_14default_configEmN2at4cuda3cub6detail10OpaqueTypeILi8EEEEELb0EPKmPmPKSA_PSA_mNS0_19identity_decomposerEEEvT1_T2_T3_T4_jPT5_SO_PNS1_23onesweep_lookback_stateET6_jjj.private_seg_size, 0
	.set _ZN7rocprim17ROCPRIM_304000_NS6detail25onesweep_iteration_kernelINS1_34wrapped_radix_sort_onesweep_configINS0_14default_configEmN2at4cuda3cub6detail10OpaqueTypeILi8EEEEELb0EPKmPmPKSA_PSA_mNS0_19identity_decomposerEEEvT1_T2_T3_T4_jPT5_SO_PNS1_23onesweep_lookback_stateET6_jjj.uses_vcc, 1
	.set _ZN7rocprim17ROCPRIM_304000_NS6detail25onesweep_iteration_kernelINS1_34wrapped_radix_sort_onesweep_configINS0_14default_configEmN2at4cuda3cub6detail10OpaqueTypeILi8EEEEELb0EPKmPmPKSA_PSA_mNS0_19identity_decomposerEEEvT1_T2_T3_T4_jPT5_SO_PNS1_23onesweep_lookback_stateET6_jjj.uses_flat_scratch, 0
	.set _ZN7rocprim17ROCPRIM_304000_NS6detail25onesweep_iteration_kernelINS1_34wrapped_radix_sort_onesweep_configINS0_14default_configEmN2at4cuda3cub6detail10OpaqueTypeILi8EEEEELb0EPKmPmPKSA_PSA_mNS0_19identity_decomposerEEEvT1_T2_T3_T4_jPT5_SO_PNS1_23onesweep_lookback_stateET6_jjj.has_dyn_sized_stack, 0
	.set _ZN7rocprim17ROCPRIM_304000_NS6detail25onesweep_iteration_kernelINS1_34wrapped_radix_sort_onesweep_configINS0_14default_configEmN2at4cuda3cub6detail10OpaqueTypeILi8EEEEELb0EPKmPmPKSA_PSA_mNS0_19identity_decomposerEEEvT1_T2_T3_T4_jPT5_SO_PNS1_23onesweep_lookback_stateET6_jjj.has_recursion, 0
	.set _ZN7rocprim17ROCPRIM_304000_NS6detail25onesweep_iteration_kernelINS1_34wrapped_radix_sort_onesweep_configINS0_14default_configEmN2at4cuda3cub6detail10OpaqueTypeILi8EEEEELb0EPKmPmPKSA_PSA_mNS0_19identity_decomposerEEEvT1_T2_T3_T4_jPT5_SO_PNS1_23onesweep_lookback_stateET6_jjj.has_indirect_call, 0
	.section	.AMDGPU.csdata,"",@progbits
; Kernel info:
; codeLenInByte = 9764
; TotalNumSgprs: 58
; NumVgprs: 42
; NumAgprs: 0
; TotalNumVgprs: 42
; ScratchSize: 0
; MemoryBound: 0
; FloatMode: 240
; IeeeMode: 1
; LDSByteSize: 49664 bytes/workgroup (compile time only)
; SGPRBlocks: 7
; VGPRBlocks: 5
; NumSGPRsForWavesPerEU: 58
; NumVGPRsForWavesPerEU: 42
; AccumOffset: 44
; Occupancy: 8
; WaveLimiterHint : 1
; COMPUTE_PGM_RSRC2:SCRATCH_EN: 0
; COMPUTE_PGM_RSRC2:USER_SGPR: 2
; COMPUTE_PGM_RSRC2:TRAP_HANDLER: 0
; COMPUTE_PGM_RSRC2:TGID_X_EN: 1
; COMPUTE_PGM_RSRC2:TGID_Y_EN: 0
; COMPUTE_PGM_RSRC2:TGID_Z_EN: 0
; COMPUTE_PGM_RSRC2:TIDIG_COMP_CNT: 2
; COMPUTE_PGM_RSRC3_GFX90A:ACCUM_OFFSET: 10
; COMPUTE_PGM_RSRC3_GFX90A:TG_SPLIT: 0
	.section	.text._ZN7rocprim17ROCPRIM_304000_NS6detail25onesweep_iteration_kernelINS1_34wrapped_radix_sort_onesweep_configINS0_14default_configEmN2at4cuda3cub6detail10OpaqueTypeILi8EEEEELb0EPmSC_PSA_SD_mNS0_19identity_decomposerEEEvT1_T2_T3_T4_jPT5_SK_PNS1_23onesweep_lookback_stateET6_jjj,"axG",@progbits,_ZN7rocprim17ROCPRIM_304000_NS6detail25onesweep_iteration_kernelINS1_34wrapped_radix_sort_onesweep_configINS0_14default_configEmN2at4cuda3cub6detail10OpaqueTypeILi8EEEEELb0EPmSC_PSA_SD_mNS0_19identity_decomposerEEEvT1_T2_T3_T4_jPT5_SK_PNS1_23onesweep_lookback_stateET6_jjj,comdat
	.protected	_ZN7rocprim17ROCPRIM_304000_NS6detail25onesweep_iteration_kernelINS1_34wrapped_radix_sort_onesweep_configINS0_14default_configEmN2at4cuda3cub6detail10OpaqueTypeILi8EEEEELb0EPmSC_PSA_SD_mNS0_19identity_decomposerEEEvT1_T2_T3_T4_jPT5_SK_PNS1_23onesweep_lookback_stateET6_jjj ; -- Begin function _ZN7rocprim17ROCPRIM_304000_NS6detail25onesweep_iteration_kernelINS1_34wrapped_radix_sort_onesweep_configINS0_14default_configEmN2at4cuda3cub6detail10OpaqueTypeILi8EEEEELb0EPmSC_PSA_SD_mNS0_19identity_decomposerEEEvT1_T2_T3_T4_jPT5_SK_PNS1_23onesweep_lookback_stateET6_jjj
	.globl	_ZN7rocprim17ROCPRIM_304000_NS6detail25onesweep_iteration_kernelINS1_34wrapped_radix_sort_onesweep_configINS0_14default_configEmN2at4cuda3cub6detail10OpaqueTypeILi8EEEEELb0EPmSC_PSA_SD_mNS0_19identity_decomposerEEEvT1_T2_T3_T4_jPT5_SK_PNS1_23onesweep_lookback_stateET6_jjj
	.p2align	8
	.type	_ZN7rocprim17ROCPRIM_304000_NS6detail25onesweep_iteration_kernelINS1_34wrapped_radix_sort_onesweep_configINS0_14default_configEmN2at4cuda3cub6detail10OpaqueTypeILi8EEEEELb0EPmSC_PSA_SD_mNS0_19identity_decomposerEEEvT1_T2_T3_T4_jPT5_SK_PNS1_23onesweep_lookback_stateET6_jjj,@function
_ZN7rocprim17ROCPRIM_304000_NS6detail25onesweep_iteration_kernelINS1_34wrapped_radix_sort_onesweep_configINS0_14default_configEmN2at4cuda3cub6detail10OpaqueTypeILi8EEEEELb0EPmSC_PSA_SD_mNS0_19identity_decomposerEEEvT1_T2_T3_T4_jPT5_SK_PNS1_23onesweep_lookback_stateET6_jjj: ; @_ZN7rocprim17ROCPRIM_304000_NS6detail25onesweep_iteration_kernelINS1_34wrapped_radix_sort_onesweep_configINS0_14default_configEmN2at4cuda3cub6detail10OpaqueTypeILi8EEEEELb0EPmSC_PSA_SD_mNS0_19identity_decomposerEEEvT1_T2_T3_T4_jPT5_SK_PNS1_23onesweep_lookback_stateET6_jjj
; %bb.0:
	s_load_dwordx4 s[44:47], s[0:1], 0x44
	s_load_dwordx8 s[36:43], s[0:1], 0x0
	s_load_dwordx4 s[28:31], s[0:1], 0x28
	s_load_dwordx2 s[34:35], s[0:1], 0x38
	s_mov_b64 s[4:5], -1
	s_waitcnt lgkmcnt(0)
	s_cmp_ge_u32 s2, s46
	s_mul_i32 s48, s2, 0x1800
	v_mbcnt_lo_u32_b32 v1, -1, 0
	s_cbranch_scc0 .LBB25_96
; %bb.1:
	s_load_dword s3, s[0:1], 0x20
	s_mul_i32 s4, s46, 0xffffe800
	s_mov_b32 s49, 0
	s_lshl_b64 s[46:47], s[48:49], 3
	v_mbcnt_hi_u32_b32 v9, -1, v1
	s_waitcnt lgkmcnt(0)
	s_add_i32 s49, s4, s3
	s_add_u32 s4, s36, s46
	v_and_b32_e32 v2, 0x3c0, v0
	s_addc_u32 s5, s37, s47
	v_mul_u32_u24_e32 v8, 6, v2
	v_mov_b32_e32 v5, 0
	v_lshlrev_b32_e32 v4, 3, v9
	v_lshl_add_u64 v[2:3], s[4:5], 0, v[4:5]
	v_lshlrev_b32_e32 v6, 3, v8
	v_mov_b32_e32 v7, v5
	v_or_b32_e32 v5, v9, v8
	v_lshl_add_u64 v[2:3], v[2:3], 0, v[6:7]
	v_cmp_gt_u32_e32 vcc, s49, v5
	v_mov_b64_e32 v[10:11], -1
	v_mov_b64_e32 v[12:13], -1
	s_and_saveexec_b64 s[4:5], vcc
	s_cbranch_execz .LBB25_3
; %bb.2:
	global_load_dwordx2 v[12:13], v[2:3], off
.LBB25_3:
	s_or_b64 exec, exec, s[4:5]
	v_add_u32_e32 v7, 64, v5
	v_cmp_gt_u32_e64 s[26:27], s49, v7
	s_and_saveexec_b64 s[4:5], s[26:27]
	s_cbranch_execz .LBB25_5
; %bb.4:
	global_load_dwordx2 v[10:11], v[2:3], off offset:512
.LBB25_5:
	s_or_b64 exec, exec, s[4:5]
	v_add_u32_e32 v7, 0x80, v5
	v_cmp_gt_u32_e64 s[4:5], s49, v7
	v_mov_b64_e32 v[14:15], -1
	v_mov_b64_e32 v[16:17], -1
	s_and_saveexec_b64 s[6:7], s[4:5]
	s_cbranch_execz .LBB25_7
; %bb.6:
	global_load_dwordx2 v[16:17], v[2:3], off offset:1024
.LBB25_7:
	s_or_b64 exec, exec, s[6:7]
	v_add_u32_e32 v7, 0xc0, v5
	v_cmp_gt_u32_e64 s[6:7], s49, v7
	s_and_saveexec_b64 s[8:9], s[6:7]
	s_cbranch_execz .LBB25_9
; %bb.8:
	global_load_dwordx2 v[14:15], v[2:3], off offset:1536
.LBB25_9:
	s_or_b64 exec, exec, s[8:9]
	v_add_u32_e32 v7, 0x100, v5
	v_cmp_gt_u32_e64 s[8:9], s49, v7
	v_mov_b64_e32 v[18:19], -1
	v_mov_b64_e32 v[20:21], -1
	s_and_saveexec_b64 s[10:11], s[8:9]
	s_cbranch_execz .LBB25_11
; %bb.10:
	global_load_dwordx2 v[20:21], v[2:3], off offset:2048
.LBB25_11:
	s_or_b64 exec, exec, s[10:11]
	v_add_u32_e32 v5, 0x140, v5
	v_and_b32_e32 v8, 0x3ff, v0
	v_cmp_gt_u32_e64 s[10:11], s49, v5
	s_and_saveexec_b64 s[12:13], s[10:11]
	s_cbranch_execz .LBB25_13
; %bb.12:
	global_load_dwordx2 v[18:19], v[2:3], off offset:2560
.LBB25_13:
	s_or_b64 exec, exec, s[12:13]
	s_load_dword s12, s[0:1], 0x5c
	s_load_dword s3, s[0:1], 0x50
	s_add_u32 s13, s0, 0x50
	s_addc_u32 s14, s1, 0
	v_mov_b32_e32 v22, 0
	s_waitcnt lgkmcnt(0)
	s_lshr_b32 s15, s12, 16
	s_cmp_lt_u32 s2, s3
	s_cselect_b32 s12, 12, 18
	s_add_u32 s12, s13, s12
	s_addc_u32 s13, s14, 0
	global_load_ushort v5, v22, s[12:13]
	v_bfe_u32 v3, v0, 10, 10
	v_bfe_u32 v7, v0, 20, 10
	s_waitcnt vmcnt(1)
	v_lshrrev_b64 v[24:25], s44, v[12:13]
	s_lshl_b32 s12, -1, s45
	v_lshlrev_b32_e32 v2, 3, v8
	v_mov_b32_e32 v23, v22
	v_mad_u32_u24 v7, v7, s15, v3
	v_bitop3_b32 v3, v24, s12, v24 bitop3:0x30
	v_mov_b32_e32 v25, v22
	ds_write_b64 v2, v[22:23] offset:64
	v_and_b32_e32 v24, 1, v3
	v_lshlrev_b32_e32 v23, 30, v3
	s_not_b32 s33, s12
	v_lshl_add_u64 v[26:27], v[24:25], 0, -1
	v_cmp_ne_u32_e64 s[12:13], 0, v24
	v_cmp_gt_i64_e64 s[14:15], 0, v[22:23]
	v_not_b32_e32 v24, v23
	v_lshlrev_b32_e32 v23, 29, v3
	v_xor_b32_e32 v25, s13, v27
	v_xor_b32_e32 v26, s12, v26
	v_ashrrev_i32_e32 v24, 31, v24
	v_cmp_gt_i64_e64 s[12:13], 0, v[22:23]
	v_not_b32_e32 v27, v23
	v_lshlrev_b32_e32 v23, 28, v3
	v_and_b32_e32 v25, exec_hi, v25
	v_and_b32_e32 v26, exec_lo, v26
	v_xor_b32_e32 v29, s15, v24
	v_xor_b32_e32 v24, s14, v24
	v_ashrrev_i32_e32 v27, 31, v27
	v_cmp_gt_i64_e64 s[14:15], 0, v[22:23]
	v_not_b32_e32 v30, v23
	v_lshlrev_b32_e32 v23, 27, v3
	s_movk_i32 s16, 0x44
	v_and_b32_e32 v25, v25, v29
	v_and_b32_e32 v24, v26, v24
	v_xor_b32_e32 v26, s13, v27
	v_xor_b32_e32 v27, s12, v27
	v_ashrrev_i32_e32 v29, 31, v30
	v_cmp_gt_i64_e64 s[12:13], 0, v[22:23]
	v_not_b32_e32 v30, v23
	v_lshlrev_b32_e32 v23, 26, v3
	v_mul_lo_u32 v28, v3, s16
	v_and_b32_e32 v3, v25, v26
	v_and_b32_e32 v24, v24, v27
	v_xor_b32_e32 v25, s15, v29
	v_xor_b32_e32 v26, s14, v29
	v_ashrrev_i32_e32 v27, 31, v30
	v_cmp_gt_i64_e64 s[14:15], 0, v[22:23]
	v_not_b32_e32 v23, v23
	v_and_b32_e32 v3, v3, v25
	v_and_b32_e32 v24, v24, v26
	v_xor_b32_e32 v25, s13, v27
	v_xor_b32_e32 v26, s12, v27
	v_ashrrev_i32_e32 v23, 31, v23
	v_and_b32_e32 v3, v3, v25
	v_and_b32_e32 v24, v24, v26
	v_xor_b32_e32 v25, s15, v23
	v_xor_b32_e32 v23, s14, v23
	v_and_b32_e32 v24, v24, v23
	v_and_b32_e32 v25, v3, v25
	v_mbcnt_lo_u32_b32 v3, v24, 0
	v_mbcnt_hi_u32_b32 v3, v25, v3
	v_cmp_ne_u64_e64 s[12:13], 0, v[24:25]
	v_cmp_eq_u32_e64 s[14:15], 0, v3
	s_and_b64 s[14:15], s[12:13], s[14:15]
	s_waitcnt lgkmcnt(0)
	s_barrier
	s_waitcnt vmcnt(0)
	; wave barrier
	v_mad_u64_u32 v[26:27], s[18:19], v7, v5, v[8:9]
	v_lshrrev_b32_e32 v5, 4, v26
	v_and_b32_e32 v32, 0xffffffc, v5
	v_add_u32_e32 v7, v32, v28
	s_and_saveexec_b64 s[12:13], s[14:15]
; %bb.14:
	v_bcnt_u32_b32 v5, v24, 0
	v_bcnt_u32_b32 v5, v25, v5
	ds_write_b32 v7, v5 offset:64
; %bb.15:
	s_or_b64 exec, exec, s[12:13]
	v_lshrrev_b64 v[24:25], s44, v[10:11]
	v_and_b32_e32 v27, s33, v24
	v_and_b32_e32 v24, 1, v27
	v_mov_b32_e32 v25, v22
	v_lshl_add_u64 v[28:29], v[24:25], 0, -1
	v_cmp_ne_u32_e64 s[12:13], 0, v24
	v_mul_lo_u32 v5, v27, s16
	v_add_u32_e32 v26, v32, v5
	v_xor_b32_e32 v23, s13, v29
	v_and_b32_e32 v25, exec_hi, v23
	v_lshlrev_b32_e32 v23, 30, v27
	v_xor_b32_e32 v24, s12, v28
	v_cmp_gt_i64_e64 s[12:13], 0, v[22:23]
	v_not_b32_e32 v23, v23
	v_ashrrev_i32_e32 v23, 31, v23
	v_and_b32_e32 v24, exec_lo, v24
	v_xor_b32_e32 v28, s13, v23
	v_xor_b32_e32 v23, s12, v23
	v_and_b32_e32 v24, v24, v23
	v_lshlrev_b32_e32 v23, 29, v27
	v_cmp_gt_i64_e64 s[12:13], 0, v[22:23]
	v_not_b32_e32 v23, v23
	v_ashrrev_i32_e32 v23, 31, v23
	v_and_b32_e32 v25, v25, v28
	v_xor_b32_e32 v28, s13, v23
	v_xor_b32_e32 v23, s12, v23
	v_and_b32_e32 v24, v24, v23
	v_lshlrev_b32_e32 v23, 28, v27
	v_cmp_gt_i64_e64 s[12:13], 0, v[22:23]
	v_not_b32_e32 v23, v23
	v_ashrrev_i32_e32 v23, 31, v23
	v_and_b32_e32 v25, v25, v28
	;; [unrolled: 8-line block ×3, first 2 shown]
	v_xor_b32_e32 v28, s13, v23
	v_xor_b32_e32 v23, s12, v23
	v_and_b32_e32 v24, v24, v23
	v_lshlrev_b32_e32 v23, 26, v27
	v_cmp_gt_i64_e64 s[12:13], 0, v[22:23]
	v_not_b32_e32 v22, v23
	v_ashrrev_i32_e32 v22, 31, v22
	v_xor_b32_e32 v23, s13, v22
	v_xor_b32_e32 v22, s12, v22
	; wave barrier
	ds_read_b32 v5, v26 offset:64
	v_and_b32_e32 v25, v25, v28
	v_and_b32_e32 v22, v24, v22
	;; [unrolled: 1-line block ×3, first 2 shown]
	v_mbcnt_lo_u32_b32 v24, v22, 0
	v_mbcnt_hi_u32_b32 v27, v23, v24
	v_cmp_eq_u32_e64 s[12:13], 0, v27
	v_cmp_ne_u64_e64 s[14:15], 0, v[22:23]
	s_and_b64 s[14:15], s[14:15], s[12:13]
	; wave barrier
	s_and_saveexec_b64 s[12:13], s[14:15]
	s_cbranch_execz .LBB25_17
; %bb.16:
	v_bcnt_u32_b32 v22, v22, 0
	v_bcnt_u32_b32 v22, v23, v22
	s_waitcnt lgkmcnt(0)
	v_add_u32_e32 v22, v5, v22
	ds_write_b32 v26, v22 offset:64
.LBB25_17:
	s_or_b64 exec, exec, s[12:13]
	v_lshrrev_b64 v[22:23], s44, v[16:17]
	v_and_b32_e32 v30, s33, v22
	v_mul_lo_u32 v22, v30, s16
	v_add_u32_e32 v29, v32, v22
	v_and_b32_e32 v22, 1, v30
	v_mov_b32_e32 v23, 0
	v_lshl_add_u64 v[24:25], v[22:23], 0, -1
	v_cmp_ne_u32_e64 s[12:13], 0, v22
	; wave barrier
	s_nop 1
	v_xor_b32_e32 v24, s12, v24
	v_xor_b32_e32 v22, s13, v25
	v_and_b32_e32 v31, exec_lo, v24
	v_lshlrev_b32_e32 v25, 30, v30
	v_mov_b32_e32 v24, v23
	v_cmp_gt_i64_e64 s[12:13], 0, v[24:25]
	v_not_b32_e32 v24, v25
	v_ashrrev_i32_e32 v24, 31, v24
	v_and_b32_e32 v22, exec_hi, v22
	v_xor_b32_e32 v25, s13, v24
	v_xor_b32_e32 v24, s12, v24
	v_and_b32_e32 v22, v22, v25
	v_and_b32_e32 v31, v31, v24
	v_lshlrev_b32_e32 v25, 29, v30
	v_mov_b32_e32 v24, v23
	v_cmp_gt_i64_e64 s[12:13], 0, v[24:25]
	v_not_b32_e32 v24, v25
	v_ashrrev_i32_e32 v24, 31, v24
	v_xor_b32_e32 v25, s13, v24
	v_xor_b32_e32 v24, s12, v24
	v_and_b32_e32 v22, v22, v25
	v_and_b32_e32 v31, v31, v24
	v_lshlrev_b32_e32 v25, 28, v30
	v_mov_b32_e32 v24, v23
	v_cmp_gt_i64_e64 s[12:13], 0, v[24:25]
	v_not_b32_e32 v24, v25
	v_ashrrev_i32_e32 v24, 31, v24
	;; [unrolled: 9-line block ×4, first 2 shown]
	v_xor_b32_e32 v25, s13, v24
	v_xor_b32_e32 v24, s12, v24
	ds_read_b32 v28, v29 offset:64
	v_and_b32_e32 v24, v31, v24
	v_and_b32_e32 v25, v22, v25
	v_mbcnt_lo_u32_b32 v22, v24, 0
	v_mbcnt_hi_u32_b32 v30, v25, v22
	v_cmp_eq_u32_e64 s[12:13], 0, v30
	v_cmp_ne_u64_e64 s[14:15], 0, v[24:25]
	s_and_b64 s[14:15], s[14:15], s[12:13]
	; wave barrier
	s_and_saveexec_b64 s[12:13], s[14:15]
	s_cbranch_execz .LBB25_19
; %bb.18:
	v_bcnt_u32_b32 v22, v24, 0
	v_bcnt_u32_b32 v22, v25, v22
	s_waitcnt lgkmcnt(0)
	v_add_u32_e32 v22, v28, v22
	ds_write_b32 v29, v22 offset:64
.LBB25_19:
	s_or_b64 exec, exec, s[12:13]
	v_lshrrev_b64 v[24:25], s44, v[14:15]
	v_and_b32_e32 v34, s33, v24
	v_mul_lo_u32 v22, v34, s16
	v_add_u32_e32 v33, v32, v22
	v_and_b32_e32 v22, 1, v34
	v_lshl_add_u64 v[24:25], v[22:23], 0, -1
	v_cmp_ne_u32_e64 s[12:13], 0, v22
	; wave barrier
	s_nop 1
	v_xor_b32_e32 v24, s12, v24
	v_xor_b32_e32 v22, s13, v25
	v_and_b32_e32 v35, exec_lo, v24
	v_lshlrev_b32_e32 v25, 30, v34
	v_mov_b32_e32 v24, v23
	v_cmp_gt_i64_e64 s[12:13], 0, v[24:25]
	v_not_b32_e32 v24, v25
	v_ashrrev_i32_e32 v24, 31, v24
	v_and_b32_e32 v22, exec_hi, v22
	v_xor_b32_e32 v25, s13, v24
	v_xor_b32_e32 v24, s12, v24
	v_and_b32_e32 v22, v22, v25
	v_and_b32_e32 v35, v35, v24
	v_lshlrev_b32_e32 v25, 29, v34
	v_mov_b32_e32 v24, v23
	v_cmp_gt_i64_e64 s[12:13], 0, v[24:25]
	v_not_b32_e32 v24, v25
	v_ashrrev_i32_e32 v24, 31, v24
	v_xor_b32_e32 v25, s13, v24
	v_xor_b32_e32 v24, s12, v24
	v_and_b32_e32 v22, v22, v25
	v_and_b32_e32 v35, v35, v24
	v_lshlrev_b32_e32 v25, 28, v34
	v_mov_b32_e32 v24, v23
	v_cmp_gt_i64_e64 s[12:13], 0, v[24:25]
	v_not_b32_e32 v24, v25
	v_ashrrev_i32_e32 v24, 31, v24
	;; [unrolled: 9-line block ×3, first 2 shown]
	v_xor_b32_e32 v25, s13, v24
	v_xor_b32_e32 v24, s12, v24
	v_and_b32_e32 v22, v22, v25
	v_lshlrev_b32_e32 v25, 26, v34
	v_and_b32_e32 v35, v35, v24
	v_mov_b32_e32 v24, v23
	v_not_b32_e32 v23, v25
	v_cmp_gt_i64_e64 s[12:13], 0, v[24:25]
	v_ashrrev_i32_e32 v23, 31, v23
	ds_read_b32 v31, v33 offset:64
	v_xor_b32_e32 v24, s13, v23
	v_xor_b32_e32 v25, s12, v23
	v_and_b32_e32 v23, v22, v24
	v_and_b32_e32 v22, v35, v25
	v_mbcnt_lo_u32_b32 v24, v22, 0
	v_mbcnt_hi_u32_b32 v34, v23, v24
	v_cmp_eq_u32_e64 s[12:13], 0, v34
	v_cmp_ne_u64_e64 s[14:15], 0, v[22:23]
	s_and_b64 s[14:15], s[14:15], s[12:13]
	; wave barrier
	s_and_saveexec_b64 s[12:13], s[14:15]
	s_cbranch_execz .LBB25_21
; %bb.20:
	v_bcnt_u32_b32 v22, v22, 0
	v_bcnt_u32_b32 v22, v23, v22
	s_waitcnt lgkmcnt(0)
	v_add_u32_e32 v22, v31, v22
	ds_write_b32 v33, v22 offset:64
.LBB25_21:
	s_or_b64 exec, exec, s[12:13]
	v_lshrrev_b64 v[22:23], s44, v[20:21]
	v_and_b32_e32 v37, s33, v22
	v_mul_lo_u32 v22, v37, s16
	v_add_u32_e32 v36, v32, v22
	v_and_b32_e32 v22, 1, v37
	v_mov_b32_e32 v23, 0
	v_lshl_add_u64 v[24:25], v[22:23], 0, -1
	v_cmp_ne_u32_e64 s[12:13], 0, v22
	; wave barrier
	s_nop 1
	v_xor_b32_e32 v24, s12, v24
	v_xor_b32_e32 v22, s13, v25
	v_and_b32_e32 v38, exec_lo, v24
	v_lshlrev_b32_e32 v25, 30, v37
	v_mov_b32_e32 v24, v23
	v_cmp_gt_i64_e64 s[12:13], 0, v[24:25]
	v_not_b32_e32 v24, v25
	v_ashrrev_i32_e32 v24, 31, v24
	v_and_b32_e32 v22, exec_hi, v22
	v_xor_b32_e32 v25, s13, v24
	v_xor_b32_e32 v24, s12, v24
	v_and_b32_e32 v22, v22, v25
	v_and_b32_e32 v38, v38, v24
	v_lshlrev_b32_e32 v25, 29, v37
	v_mov_b32_e32 v24, v23
	v_cmp_gt_i64_e64 s[12:13], 0, v[24:25]
	v_not_b32_e32 v24, v25
	v_ashrrev_i32_e32 v24, 31, v24
	v_xor_b32_e32 v25, s13, v24
	v_xor_b32_e32 v24, s12, v24
	v_and_b32_e32 v22, v22, v25
	v_and_b32_e32 v38, v38, v24
	v_lshlrev_b32_e32 v25, 28, v37
	v_mov_b32_e32 v24, v23
	v_cmp_gt_i64_e64 s[12:13], 0, v[24:25]
	v_not_b32_e32 v24, v25
	v_ashrrev_i32_e32 v24, 31, v24
	;; [unrolled: 9-line block ×4, first 2 shown]
	v_xor_b32_e32 v25, s13, v24
	v_xor_b32_e32 v24, s12, v24
	ds_read_b32 v35, v36 offset:64
	v_and_b32_e32 v24, v38, v24
	v_and_b32_e32 v25, v22, v25
	v_mbcnt_lo_u32_b32 v22, v24, 0
	v_mbcnt_hi_u32_b32 v37, v25, v22
	v_cmp_eq_u32_e64 s[12:13], 0, v37
	v_cmp_ne_u64_e64 s[14:15], 0, v[24:25]
	s_and_b64 s[14:15], s[14:15], s[12:13]
	; wave barrier
	s_and_saveexec_b64 s[12:13], s[14:15]
	s_cbranch_execz .LBB25_23
; %bb.22:
	v_bcnt_u32_b32 v22, v24, 0
	v_bcnt_u32_b32 v22, v25, v22
	s_waitcnt lgkmcnt(0)
	v_add_u32_e32 v22, v35, v22
	ds_write_b32 v36, v22 offset:64
.LBB25_23:
	s_or_b64 exec, exec, s[12:13]
	v_lshrrev_b64 v[24:25], s44, v[18:19]
	v_and_b32_e32 v25, s33, v24
	v_mul_lo_u32 v22, v25, s16
	v_add_u32_e32 v24, v32, v22
	v_and_b32_e32 v22, 1, v25
	v_lshl_add_u64 v[40:41], v[22:23], 0, -1
	v_cmp_ne_u32_e64 s[12:13], 0, v22
	; wave barrier
	s_nop 1
	v_xor_b32_e32 v22, s13, v41
	v_lshlrev_b32_e32 v41, 30, v25
	v_xor_b32_e32 v32, s12, v40
	v_mov_b32_e32 v40, v23
	v_not_b32_e32 v39, v41
	v_cmp_gt_i64_e64 s[12:13], 0, v[40:41]
	v_ashrrev_i32_e32 v39, 31, v39
	v_and_b32_e32 v22, exec_hi, v22
	v_and_b32_e32 v32, exec_lo, v32
	v_xor_b32_e32 v40, s13, v39
	v_xor_b32_e32 v39, s12, v39
	v_lshlrev_b32_e32 v41, 29, v25
	v_and_b32_e32 v22, v22, v40
	v_and_b32_e32 v32, v32, v39
	v_mov_b32_e32 v40, v23
	v_not_b32_e32 v39, v41
	v_cmp_gt_i64_e64 s[12:13], 0, v[40:41]
	v_ashrrev_i32_e32 v39, 31, v39
	v_lshlrev_b32_e32 v41, 28, v25
	v_xor_b32_e32 v40, s13, v39
	v_xor_b32_e32 v39, s12, v39
	v_and_b32_e32 v22, v22, v40
	v_and_b32_e32 v32, v32, v39
	v_mov_b32_e32 v40, v23
	v_not_b32_e32 v39, v41
	v_cmp_gt_i64_e64 s[12:13], 0, v[40:41]
	v_ashrrev_i32_e32 v39, 31, v39
	v_lshlrev_b32_e32 v41, 27, v25
	v_xor_b32_e32 v40, s13, v39
	v_xor_b32_e32 v39, s12, v39
	v_and_b32_e32 v22, v22, v40
	v_and_b32_e32 v32, v32, v39
	v_mov_b32_e32 v40, v23
	v_not_b32_e32 v39, v41
	v_cmp_gt_i64_e64 s[12:13], 0, v[40:41]
	v_ashrrev_i32_e32 v39, 31, v39
	v_lshlrev_b32_e32 v41, 26, v25
	v_xor_b32_e32 v40, s13, v39
	v_and_b32_e32 v22, v22, v40
	v_mov_b32_e32 v40, v23
	v_not_b32_e32 v23, v41
	v_xor_b32_e32 v39, s12, v39
	v_cmp_gt_i64_e64 s[12:13], 0, v[40:41]
	v_ashrrev_i32_e32 v23, 31, v23
	v_and_b32_e32 v32, v32, v39
	v_xor_b32_e32 v25, s13, v23
	v_xor_b32_e32 v39, s12, v23
	ds_read_b32 v38, v24 offset:64
	v_and_b32_e32 v23, v22, v25
	v_and_b32_e32 v22, v32, v39
	v_mbcnt_lo_u32_b32 v25, v22, 0
	v_mbcnt_hi_u32_b32 v39, v23, v25
	v_cmp_eq_u32_e64 s[12:13], 0, v39
	v_cmp_ne_u64_e64 s[14:15], 0, v[22:23]
	s_and_b64 s[14:15], s[14:15], s[12:13]
	; wave barrier
	s_and_saveexec_b64 s[12:13], s[14:15]
	s_cbranch_execz .LBB25_25
; %bb.24:
	v_bcnt_u32_b32 v22, v22, 0
	v_bcnt_u32_b32 v22, v23, v22
	s_waitcnt lgkmcnt(0)
	v_add_u32_e32 v22, v38, v22
	ds_write_b32 v24, v22 offset:64
.LBB25_25:
	s_or_b64 exec, exec, s[12:13]
	; wave barrier
	s_waitcnt lgkmcnt(0)
	s_barrier
	ds_read_b64 v[22:23], v2 offset:64
	v_and_b32_e32 v25, 15, v9
	v_cmp_eq_u32_e64 s[12:13], 0, v25
	v_cmp_lt_u32_e64 s[14:15], 1, v25
	v_cmp_lt_u32_e64 s[16:17], 3, v25
	s_waitcnt lgkmcnt(0)
	v_add_u32_e32 v23, v23, v22
	v_cmp_lt_u32_e64 s[18:19], 7, v25
	v_cmp_lt_u32_e64 s[20:21], 31, v9
	v_mov_b32_dpp v32, v23 row_shr:1 row_mask:0xf bank_mask:0xf
	v_cndmask_b32_e64 v32, v32, 0, s[12:13]
	v_add_u32_e32 v23, v32, v23
	s_nop 1
	v_mov_b32_dpp v32, v23 row_shr:2 row_mask:0xf bank_mask:0xf
	v_cndmask_b32_e64 v32, 0, v32, s[14:15]
	v_add_u32_e32 v23, v23, v32
	s_nop 1
	;; [unrolled: 4-line block ×3, first 2 shown]
	v_mov_b32_dpp v32, v23 row_shr:8 row_mask:0xf bank_mask:0xf
	v_cndmask_b32_e64 v25, 0, v32, s[18:19]
	v_add_u32_e32 v23, v23, v25
	v_bfe_i32 v32, v9, 4, 1
	s_nop 0
	v_mov_b32_dpp v25, v23 row_bcast:15 row_mask:0xf bank_mask:0xf
	v_and_b32_e32 v25, v32, v25
	v_add_u32_e32 v23, v23, v25
	v_and_b32_e32 v32, 63, v8
	s_nop 0
	v_mov_b32_dpp v25, v23 row_bcast:31 row_mask:0xf bank_mask:0xf
	v_cndmask_b32_e64 v25, 0, v25, s[20:21]
	v_add_u32_e32 v23, v23, v25
	v_lshrrev_b32_e32 v25, 6, v8
	v_cmp_eq_u32_e64 s[20:21], 63, v32
	s_and_saveexec_b64 s[22:23], s[20:21]
; %bb.26:
	v_lshlrev_b32_e32 v32, 2, v25
	ds_write_b32 v32, v23
; %bb.27:
	s_or_b64 exec, exec, s[22:23]
	v_cmp_gt_u32_e64 s[20:21], 16, v8
	s_waitcnt lgkmcnt(0)
	s_barrier
	s_and_saveexec_b64 s[22:23], s[20:21]
	s_cbranch_execz .LBB25_29
; %bb.28:
	v_lshlrev_b32_e32 v32, 2, v8
	ds_read_b32 v40, v32
	s_waitcnt lgkmcnt(0)
	s_nop 0
	v_mov_b32_dpp v41, v40 row_shr:1 row_mask:0xf bank_mask:0xf
	v_cndmask_b32_e64 v41, v41, 0, s[12:13]
	v_add_u32_e32 v40, v41, v40
	s_nop 1
	v_mov_b32_dpp v41, v40 row_shr:2 row_mask:0xf bank_mask:0xf
	v_cndmask_b32_e64 v41, 0, v41, s[14:15]
	v_add_u32_e32 v40, v40, v41
	;; [unrolled: 4-line block ×4, first 2 shown]
	ds_write_b32 v32, v40
.LBB25_29:
	s_or_b64 exec, exec, s[22:23]
	v_cmp_gt_u32_e64 s[14:15], 64, v8
	v_cmp_lt_u32_e64 s[12:13], 63, v8
	v_mov_b32_e32 v32, 0
	s_waitcnt lgkmcnt(0)
	s_barrier
	s_and_saveexec_b64 s[16:17], s[12:13]
; %bb.30:
	v_lshl_add_u32 v25, v25, 2, -4
	ds_read_b32 v32, v25
; %bb.31:
	s_or_b64 exec, exec, s[16:17]
	v_add_u32_e32 v25, -1, v9
	v_and_b32_e32 v40, 64, v9
	v_cmp_lt_i32_e64 s[16:17], v25, v40
	s_waitcnt lgkmcnt(0)
	v_add_u32_e32 v23, v32, v23
	v_cndmask_b32_e64 v25, v25, v9, s[16:17]
	v_lshlrev_b32_e32 v25, 2, v25
	ds_bpermute_b32 v23, v25, v23
	v_cmp_eq_u32_e64 s[16:17], 0, v9
	s_waitcnt lgkmcnt(0)
	s_nop 0
	v_cndmask_b32_e64 v9, v23, v32, s[16:17]
	v_cmp_ne_u32_e64 s[16:17], 0, v8
	s_nop 1
	v_cndmask_b32_e64 v40, 0, v9, s[16:17]
	v_add_u32_e32 v41, v40, v22
	ds_write_b64 v2, v[40:41] offset:64
	s_waitcnt lgkmcnt(0)
	s_barrier
	ds_read_b32 v25, v7 offset:64
	ds_read_b32 v32, v26 offset:64
	;; [unrolled: 1-line block ×6, first 2 shown]
	v_mov_b64_e32 v[22:23], 0
                                        ; implicit-def: $vgpr24
	s_and_saveexec_b64 s[18:19], s[14:15]
	s_cbranch_execz .LBB25_35
; %bb.32:
	v_mul_u32_u24_e32 v22, 0x44, v8
	ds_read_b32 v22, v22 offset:64
	v_add_u32_e32 v24, 1, v8
	v_cmp_ne_u32_e64 s[16:17], 64, v24
	v_mov_b32_e32 v23, 0x1800
	s_and_saveexec_b64 s[20:21], s[16:17]
; %bb.33:
	v_mul_u32_u24_e32 v23, 0x44, v24
	ds_read_b32 v23, v23 offset:64
; %bb.34:
	s_or_b64 exec, exec, s[20:21]
	s_waitcnt lgkmcnt(0)
	v_sub_u32_e32 v24, v23, v22
	v_mov_b32_e32 v23, 0
.LBB25_35:
	s_or_b64 exec, exec, s[18:19]
	v_lshlrev_b32_e32 v3, 3, v3
	s_waitcnt lgkmcnt(5)
	v_lshl_add_u32 v25, v25, 3, v3
	s_waitcnt lgkmcnt(0)
	s_barrier
	ds_write_b64 v25, v[12:13] offset:512
	v_lshlrev_b32_e32 v3, 3, v27
	v_lshlrev_b32_e32 v5, 3, v5
	;; [unrolled: 1-line block ×3, first 2 shown]
	v_add3_u32 v32, v3, v5, v12
	ds_write_b64 v32, v[10:11] offset:512
	v_lshlrev_b32_e32 v3, 3, v30
	v_lshlrev_b32_e32 v5, 3, v28
	v_lshlrev_b32_e32 v10, 3, v29
	v_add3_u32 v33, v3, v5, v10
	v_lshlrev_b32_e32 v3, 3, v34
	v_lshlrev_b32_e32 v5, 3, v31
	v_lshlrev_b32_e32 v10, 3, v26
	v_add3_u32 v34, v3, v5, v10
	;; [unrolled: 4-line block ×4, first 2 shown]
	v_mov_b32_e32 v11, 0
	ds_write_b64 v33, v[16:17] offset:512
	ds_write_b64 v34, v[14:15] offset:512
	;; [unrolled: 1-line block ×4, first 2 shown]
	s_waitcnt lgkmcnt(0)
	s_barrier
	s_and_saveexec_b64 s[16:17], s[14:15]
	s_cbranch_execz .LBB25_45
; %bb.36:
	v_lshl_add_u32 v10, s2, 6, v8
	v_lshl_add_u64 v[12:13], v[10:11], 2, s[34:35]
	v_or_b32_e32 v3, 2.0, v24
	global_store_dword v[12:13], v3, off sc1
	s_mov_b64 s[18:19], 0
	s_brev_b32 s24, -4
	s_mov_b32 s25, s2
	v_mov_b32_e32 v3, 0
                                        ; implicit-def: $sgpr14_sgpr15
	s_branch .LBB25_39
.LBB25_37:                              ;   in Loop: Header=BB25_39 Depth=1
	s_or_b64 exec, exec, s[22:23]
.LBB25_38:                              ;   in Loop: Header=BB25_39 Depth=1
	s_or_b64 exec, exec, s[20:21]
	v_and_b32_e32 v7, 0x3fffffff, v5
	v_add_u32_e32 v3, v7, v3
	v_cmp_gt_i32_e64 s[14:15], -2.0, v5
	s_and_b64 s[20:21], exec, s[14:15]
	s_or_b64 s[18:19], s[20:21], s[18:19]
	s_andn2_b64 exec, exec, s[18:19]
	s_cbranch_execz .LBB25_44
.LBB25_39:                              ; =>This Loop Header: Depth=1
                                        ;     Child Loop BB25_42 Depth 2
	s_or_b64 s[14:15], s[14:15], exec
	s_cmp_eq_u32 s25, 0
	s_cbranch_scc1 .LBB25_43
; %bb.40:                               ;   in Loop: Header=BB25_39 Depth=1
	s_add_i32 s25, s25, -1
	v_lshl_or_b32 v10, s25, 6, v8
	v_lshl_add_u64 v[14:15], v[10:11], 2, s[34:35]
	global_load_dword v5, v[14:15], off sc1
	s_waitcnt vmcnt(0)
	v_cmp_gt_u32_e64 s[14:15], 2.0, v5
	s_and_saveexec_b64 s[20:21], s[14:15]
	s_cbranch_execz .LBB25_38
; %bb.41:                               ;   in Loop: Header=BB25_39 Depth=1
	s_mov_b64 s[22:23], 0
.LBB25_42:                              ;   Parent Loop BB25_39 Depth=1
                                        ; =>  This Inner Loop Header: Depth=2
	global_load_dword v5, v[14:15], off sc1
	s_waitcnt vmcnt(0)
	v_cmp_lt_u32_e64 s[14:15], s24, v5
	s_or_b64 s[22:23], s[14:15], s[22:23]
	s_andn2_b64 exec, exec, s[22:23]
	s_cbranch_execnz .LBB25_42
	s_branch .LBB25_37
.LBB25_43:                              ;   in Loop: Header=BB25_39 Depth=1
                                        ; implicit-def: $sgpr25
	s_and_b64 s[20:21], exec, s[14:15]
	s_or_b64 s[18:19], s[20:21], s[18:19]
	s_andn2_b64 exec, exec, s[18:19]
	s_cbranch_execnz .LBB25_39
.LBB25_44:
	s_or_b64 exec, exec, s[18:19]
	v_add_u32_e32 v5, v3, v24
	v_or_b32_e32 v5, 0x80000000, v5
	global_store_dword v[12:13], v5, off sc1
	global_load_dwordx2 v[10:11], v2, s[28:29]
	v_sub_co_u32_e64 v12, s[14:15], v3, v22
	s_nop 1
	v_subb_co_u32_e64 v13, s[14:15], 0, v23, s[14:15]
	s_waitcnt vmcnt(0)
	v_lshl_add_u64 v[10:11], v[12:13], 0, v[10:11]
	ds_write_b64 v2, v[10:11]
.LBB25_45:
	s_or_b64 exec, exec, s[16:17]
	v_cmp_gt_u32_e64 s[14:15], s49, v8
	s_waitcnt lgkmcnt(0)
	s_barrier
	s_and_saveexec_b64 s[16:17], s[14:15]
	s_cbranch_execz .LBB25_47
; %bb.46:
	ds_read_b64 v[10:11], v2 offset:512
	s_waitcnt lgkmcnt(0)
	v_lshrrev_b64 v[12:13], s44, v[10:11]
	v_and_b32_e32 v3, s33, v12
	v_lshlrev_b32_e32 v3, 3, v3
	ds_read_b64 v[12:13], v3
	v_mov_b32_e32 v3, 0
	s_waitcnt lgkmcnt(0)
	v_lshl_add_u64 v[12:13], v[12:13], 3, s[38:39]
	v_lshl_add_u64 v[12:13], v[12:13], 0, v[2:3]
	global_store_dwordx2 v[12:13], v[10:11], off
.LBB25_47:
	s_or_b64 exec, exec, s[16:17]
	v_or_b32_e32 v3, 0x400, v8
	v_cmp_gt_u32_e64 s[16:17], s49, v3
	v_lshlrev_b32_e32 v10, 3, v3
	s_and_saveexec_b64 s[18:19], s[16:17]
	s_cbranch_execz .LBB25_49
; %bb.48:
	ds_read_b64 v[12:13], v2 offset:8704
	v_mov_b32_e32 v11, 0
	s_waitcnt lgkmcnt(0)
	v_lshrrev_b64 v[14:15], s44, v[12:13]
	v_and_b32_e32 v3, s33, v14
	v_lshlrev_b32_e32 v3, 3, v3
	ds_read_b64 v[14:15], v3
	s_waitcnt lgkmcnt(0)
	v_lshl_add_u64 v[14:15], v[14:15], 3, s[38:39]
	v_lshl_add_u64 v[14:15], v[14:15], 0, v[10:11]
	global_store_dwordx2 v[14:15], v[12:13], off
.LBB25_49:
	s_or_b64 exec, exec, s[18:19]
	v_or_b32_e32 v3, 0x800, v8
	v_cmp_gt_u32_e64 s[18:19], s49, v3
	v_lshlrev_b32_e32 v12, 3, v3
	s_and_saveexec_b64 s[20:21], s[18:19]
	s_cbranch_execz .LBB25_51
; %bb.50:
	ds_read_b64 v[14:15], v2 offset:16896
	v_mov_b32_e32 v13, 0
	s_waitcnt lgkmcnt(0)
	v_lshrrev_b64 v[16:17], s44, v[14:15]
	v_and_b32_e32 v3, s33, v16
	v_lshlrev_b32_e32 v3, 3, v3
	ds_read_b64 v[16:17], v3
	s_waitcnt lgkmcnt(0)
	v_lshl_add_u64 v[16:17], v[16:17], 3, s[38:39]
	v_lshl_add_u64 v[16:17], v[16:17], 0, v[12:13]
	global_store_dwordx2 v[16:17], v[14:15], off
.LBB25_51:
	;; [unrolled: 19-line block ×5, first 2 shown]
	s_or_b64 exec, exec, s[50:51]
	s_add_u32 s46, s40, s46
	s_addc_u32 s47, s41, s47
	v_mov_b32_e32 v5, 0
	v_lshl_add_u64 v[18:19], s[46:47], 0, v[4:5]
	v_mov_b32_e32 v7, v5
	v_lshl_add_u64 v[30:31], v[18:19], 0, v[6:7]
                                        ; implicit-def: $vgpr4_vgpr5
	s_and_saveexec_b64 s[46:47], vcc
	s_xor_b64 s[46:47], exec, s[46:47]
	s_cbranch_execz .LBB25_63
; %bb.58:
	global_load_dwordx2 v[4:5], v[30:31], off
	s_or_b64 exec, exec, s[46:47]
                                        ; implicit-def: $vgpr6_vgpr7
	s_and_saveexec_b64 s[46:47], s[26:27]
	s_cbranch_execnz .LBB25_64
.LBB25_59:
	s_or_b64 exec, exec, s[46:47]
                                        ; implicit-def: $vgpr18_vgpr19
	s_and_saveexec_b64 s[26:27], s[4:5]
	s_cbranch_execz .LBB25_65
.LBB25_60:
	global_load_dwordx2 v[18:19], v[30:31], off offset:1024
	s_or_b64 exec, exec, s[26:27]
                                        ; implicit-def: $vgpr20_vgpr21
	s_and_saveexec_b64 s[4:5], s[6:7]
	s_cbranch_execnz .LBB25_66
.LBB25_61:
	s_or_b64 exec, exec, s[4:5]
                                        ; implicit-def: $vgpr26_vgpr27
	s_and_saveexec_b64 s[4:5], s[8:9]
	s_cbranch_execz .LBB25_67
.LBB25_62:
	global_load_dwordx2 v[26:27], v[30:31], off offset:2048
	s_or_b64 exec, exec, s[4:5]
                                        ; implicit-def: $vgpr28_vgpr29
	s_and_saveexec_b64 s[4:5], s[10:11]
	s_cbranch_execnz .LBB25_68
	s_branch .LBB25_69
.LBB25_63:
	s_or_b64 exec, exec, s[46:47]
                                        ; implicit-def: $vgpr6_vgpr7
	s_and_saveexec_b64 s[46:47], s[26:27]
	s_cbranch_execz .LBB25_59
.LBB25_64:
	global_load_dwordx2 v[6:7], v[30:31], off offset:512
	s_or_b64 exec, exec, s[46:47]
                                        ; implicit-def: $vgpr18_vgpr19
	s_and_saveexec_b64 s[26:27], s[4:5]
	s_cbranch_execnz .LBB25_60
.LBB25_65:
	s_or_b64 exec, exec, s[26:27]
                                        ; implicit-def: $vgpr20_vgpr21
	s_and_saveexec_b64 s[4:5], s[6:7]
	s_cbranch_execz .LBB25_61
.LBB25_66:
	global_load_dwordx2 v[20:21], v[30:31], off offset:1536
	s_or_b64 exec, exec, s[4:5]
                                        ; implicit-def: $vgpr26_vgpr27
	s_and_saveexec_b64 s[4:5], s[8:9]
	s_cbranch_execnz .LBB25_62
.LBB25_67:
	s_or_b64 exec, exec, s[4:5]
                                        ; implicit-def: $vgpr28_vgpr29
	s_and_saveexec_b64 s[4:5], s[10:11]
	s_cbranch_execz .LBB25_69
.LBB25_68:
	global_load_dwordx2 v[28:29], v[30:31], off offset:2560
.LBB25_69:
	s_or_b64 exec, exec, s[4:5]
	v_mov_b32_e32 v11, 0
	v_mov_b32_e32 v3, 0
	s_and_saveexec_b64 s[4:5], s[14:15]
	s_cbranch_execz .LBB25_71
; %bb.70:
	ds_read_b64 v[30:31], v2 offset:512
	s_waitcnt lgkmcnt(0)
	v_lshrrev_b64 v[30:31], s44, v[30:31]
	v_and_b32_e32 v3, s33, v30
.LBB25_71:
	s_or_b64 exec, exec, s[4:5]
	s_and_saveexec_b64 s[4:5], s[16:17]
	s_cbranch_execz .LBB25_73
; %bb.72:
	ds_read_b64 v[30:31], v2 offset:8704
	s_waitcnt lgkmcnt(0)
	v_lshrrev_b64 v[30:31], s44, v[30:31]
	v_and_b32_e32 v11, s33, v30
.LBB25_73:
	s_or_b64 exec, exec, s[4:5]
	v_mov_b32_e32 v15, 0
	v_mov_b32_e32 v13, 0
	s_and_saveexec_b64 s[4:5], s[18:19]
	s_cbranch_execz .LBB25_75
; %bb.74:
	ds_read_b64 v[30:31], v2 offset:16896
	s_waitcnt lgkmcnt(0)
	v_lshrrev_b64 v[30:31], s44, v[30:31]
	v_and_b32_e32 v13, s33, v30
.LBB25_75:
	s_or_b64 exec, exec, s[4:5]
	s_and_saveexec_b64 s[4:5], s[20:21]
	s_cbranch_execz .LBB25_77
; %bb.76:
	ds_read_b64 v[30:31], v2 offset:25088
	s_waitcnt lgkmcnt(0)
	v_lshrrev_b64 v[30:31], s44, v[30:31]
	v_and_b32_e32 v15, s33, v30
.LBB25_77:
	;; [unrolled: 20-line block ×3, first 2 shown]
	s_or_b64 exec, exec, s[4:5]
	s_barrier
	s_waitcnt vmcnt(0)
	ds_write_b64 v25, v[4:5] offset:512
	ds_write_b64 v32, v[6:7] offset:512
	;; [unrolled: 1-line block ×6, first 2 shown]
	s_waitcnt lgkmcnt(0)
	s_barrier
	s_and_saveexec_b64 s[4:5], s[14:15]
	s_cbranch_execz .LBB25_87
; %bb.82:
	v_lshlrev_b32_e32 v3, 3, v3
	ds_read_b64 v[4:5], v3
	ds_read_b64 v[6:7], v2 offset:512
	v_mov_b32_e32 v3, 0
	s_waitcnt lgkmcnt(1)
	v_lshl_add_u64 v[4:5], v[4:5], 3, s[42:43]
	v_lshl_add_u64 v[4:5], v[4:5], 0, v[2:3]
	s_waitcnt lgkmcnt(0)
	global_store_dwordx2 v[4:5], v[6:7], off
	s_or_b64 exec, exec, s[4:5]
	s_and_saveexec_b64 s[4:5], s[16:17]
	s_cbranch_execnz .LBB25_88
.LBB25_83:
	s_or_b64 exec, exec, s[4:5]
	s_and_saveexec_b64 s[4:5], s[18:19]
	s_cbranch_execz .LBB25_89
.LBB25_84:
	v_lshlrev_b32_e32 v3, 3, v13
	ds_read_b64 v[4:5], v3
	ds_read_b64 v[6:7], v2 offset:16896
	v_mov_b32_e32 v13, 0
	s_waitcnt lgkmcnt(1)
	v_lshl_add_u64 v[4:5], v[4:5], 3, s[42:43]
	v_lshl_add_u64 v[4:5], v[4:5], 0, v[12:13]
	s_waitcnt lgkmcnt(0)
	global_store_dwordx2 v[4:5], v[6:7], off
	s_or_b64 exec, exec, s[4:5]
	s_and_saveexec_b64 s[4:5], s[20:21]
	s_cbranch_execnz .LBB25_90
.LBB25_85:
	s_or_b64 exec, exec, s[4:5]
	s_and_saveexec_b64 s[4:5], s[22:23]
	s_cbranch_execz .LBB25_91
.LBB25_86:
	v_lshlrev_b32_e32 v3, 3, v17
	ds_read_b64 v[4:5], v3
	ds_read_b64 v[6:7], v2 offset:33280
	v_mov_b32_e32 v17, 0
	s_waitcnt lgkmcnt(1)
	v_lshl_add_u64 v[4:5], v[4:5], 3, s[42:43]
	v_lshl_add_u64 v[4:5], v[4:5], 0, v[16:17]
	s_waitcnt lgkmcnt(0)
	global_store_dwordx2 v[4:5], v[6:7], off
	s_or_b64 exec, exec, s[4:5]
	s_and_saveexec_b64 s[4:5], s[24:25]
	s_cbranch_execnz .LBB25_92
	s_branch .LBB25_93
.LBB25_87:
	s_or_b64 exec, exec, s[4:5]
	s_and_saveexec_b64 s[4:5], s[16:17]
	s_cbranch_execz .LBB25_83
.LBB25_88:
	v_lshlrev_b32_e32 v3, 3, v11
	ds_read_b64 v[4:5], v3
	ds_read_b64 v[6:7], v2 offset:8704
	v_mov_b32_e32 v11, 0
	s_waitcnt lgkmcnt(1)
	v_lshl_add_u64 v[4:5], v[4:5], 3, s[42:43]
	v_lshl_add_u64 v[4:5], v[4:5], 0, v[10:11]
	s_waitcnt lgkmcnt(0)
	global_store_dwordx2 v[4:5], v[6:7], off
	s_or_b64 exec, exec, s[4:5]
	s_and_saveexec_b64 s[4:5], s[18:19]
	s_cbranch_execnz .LBB25_84
.LBB25_89:
	s_or_b64 exec, exec, s[4:5]
	s_and_saveexec_b64 s[4:5], s[20:21]
	s_cbranch_execz .LBB25_85
.LBB25_90:
	v_lshlrev_b32_e32 v3, 3, v15
	ds_read_b64 v[4:5], v3
	ds_read_b64 v[6:7], v2 offset:25088
	v_mov_b32_e32 v15, 0
	s_waitcnt lgkmcnt(1)
	v_lshl_add_u64 v[4:5], v[4:5], 3, s[42:43]
	v_lshl_add_u64 v[4:5], v[4:5], 0, v[14:15]
	s_waitcnt lgkmcnt(0)
	global_store_dwordx2 v[4:5], v[6:7], off
	s_or_b64 exec, exec, s[4:5]
	s_and_saveexec_b64 s[4:5], s[22:23]
	s_cbranch_execnz .LBB25_86
.LBB25_91:
	s_or_b64 exec, exec, s[4:5]
	s_and_saveexec_b64 s[4:5], s[24:25]
	s_cbranch_execz .LBB25_93
.LBB25_92:
	v_lshlrev_b32_e32 v3, 3, v9
	ds_read_b64 v[4:5], v3
	ds_read_b64 v[6:7], v2 offset:41472
	v_mov_b32_e32 v9, 0
	s_waitcnt lgkmcnt(1)
	v_lshl_add_u64 v[4:5], v[4:5], 3, s[42:43]
	v_lshl_add_u64 v[4:5], v[4:5], 0, v[8:9]
	s_waitcnt lgkmcnt(0)
	global_store_dwordx2 v[4:5], v[6:7], off
.LBB25_93:
	s_or_b64 exec, exec, s[4:5]
	s_add_i32 s3, s3, -1
	s_cmp_eq_u32 s2, s3
	s_cselect_b64 s[4:5], -1, 0
	s_xor_b64 s[6:7], s[12:13], -1
	s_and_b64 s[6:7], s[6:7], s[4:5]
	s_and_saveexec_b64 s[4:5], s[6:7]
	s_cbranch_execz .LBB25_95
; %bb.94:
	ds_read_b64 v[4:5], v2
	v_mov_b32_e32 v25, 0
	v_lshl_add_u64 v[6:7], v[22:23], 0, v[24:25]
	s_waitcnt lgkmcnt(0)
	v_lshl_add_u64 v[4:5], v[6:7], 0, v[4:5]
	global_store_dwordx2 v2, v[4:5], s[30:31]
.LBB25_95:
	s_or_b64 exec, exec, s[4:5]
	s_mov_b64 s[4:5], 0
.LBB25_96:
	s_and_b64 vcc, exec, s[4:5]
	s_cbranch_vccz .LBB25_131
; %bb.97:
	s_mov_b32 s49, 0
	s_lshl_b64 s[12:13], s[48:49], 3
	s_add_u32 s4, s36, s12
	v_mbcnt_hi_u32_b32 v1, -1, v1
	v_and_b32_e32 v2, 0x3c0, v0
	v_mov_b32_e32 v21, 0
	s_addc_u32 s5, s37, s13
	v_mul_u32_u24_e32 v4, 6, v2
	v_lshlrev_b32_e32 v2, 3, v1
	v_mov_b32_e32 v3, v21
	v_lshl_add_u64 v[6:7], s[4:5], 0, v[2:3]
	v_lshlrev_b32_e32 v4, 3, v4
	v_mov_b32_e32 v5, v21
	v_lshl_add_u64 v[22:23], v[6:7], 0, v[4:5]
	global_load_dwordx2 v[8:9], v[22:23], off
	s_load_dword s4, s[0:1], 0x5c
	s_load_dword s3, s[0:1], 0x50
	s_add_u32 s0, s0, 0x50
	s_addc_u32 s1, s1, 0
	v_and_b32_e32 v6, 0x3ff, v0
	s_waitcnt lgkmcnt(0)
	s_lshr_b32 s4, s4, 16
	s_cmp_lt_u32 s2, s3
	s_cselect_b32 s5, 12, 18
	s_add_u32 s0, s0, s5
	s_addc_u32 s1, s1, 0
	global_load_ushort v3, v21, s[0:1]
	global_load_dwordx2 v[18:19], v[22:23], off offset:512
	global_load_dwordx2 v[16:17], v[22:23], off offset:1024
	global_load_dwordx2 v[14:15], v[22:23], off offset:1536
	global_load_dwordx2 v[12:13], v[22:23], off offset:2048
	global_load_dwordx2 v[10:11], v[22:23], off offset:2560
	v_bfe_u32 v5, v0, 10, 10
	v_bfe_u32 v7, v0, 20, 10
	s_lshl_b32 s0, -1, s45
	v_lshlrev_b32_e32 v0, 3, v6
	v_mov_b32_e32 v20, v21
	v_mad_u32_u24 v5, v7, s4, v5
	s_movk_i32 s15, 0x44
	ds_write_b64 v0, v[20:21] offset:64
	v_mov_b32_e32 v22, v21
	v_mov_b32_e32 v24, v21
	s_not_b32 s14, s0
	v_mov_b32_e32 v26, v21
	v_mov_b32_e32 v28, v21
	v_mov_b32_e32 v30, v21
	s_waitcnt lgkmcnt(0)
	s_barrier
	s_waitcnt vmcnt(6)
	; wave barrier
	v_lshrrev_b64 v[32:33], s44, v[8:9]
	v_bitop3_b32 v7, v32, s0, v32 bitop3:0x30
	v_and_b32_e32 v20, 1, v7
	v_lshlrev_b32_e32 v23, 30, v7
	v_mul_lo_u32 v34, v7, s15
	v_lshlrev_b32_e32 v25, 29, v7
	v_lshlrev_b32_e32 v27, 28, v7
	;; [unrolled: 1-line block ×4, first 2 shown]
	v_lshl_add_u64 v[32:33], v[20:21], 0, -1
	v_cmp_ne_u32_e32 vcc, 0, v20
	v_not_b32_e32 v7, v23
	v_cmp_gt_i64_e64 s[0:1], 0, v[22:23]
	v_cmp_gt_i64_e64 s[4:5], 0, v[24:25]
	v_not_b32_e32 v20, v25
	v_not_b32_e32 v24, v27
	v_not_b32_e32 v25, v29
	s_waitcnt vmcnt(5)
	v_mad_u64_u32 v[22:23], s[16:17], v5, v3, v[6:7]
	v_xor_b32_e32 v5, vcc_lo, v32
	v_ashrrev_i32_e32 v7, 31, v7
	v_xor_b32_e32 v3, vcc_hi, v33
	v_ashrrev_i32_e32 v20, 31, v20
	v_ashrrev_i32_e32 v23, 31, v24
	;; [unrolled: 1-line block ×3, first 2 shown]
	v_and_b32_e32 v5, exec_lo, v5
	v_xor_b32_e32 v25, s1, v7
	v_xor_b32_e32 v7, s0, v7
	v_cmp_gt_i64_e64 s[6:7], 0, v[26:27]
	v_and_b32_e32 v3, exec_hi, v3
	v_xor_b32_e32 v26, s5, v20
	v_xor_b32_e32 v20, s4, v20
	v_and_b32_e32 v5, v5, v7
	v_cmp_gt_i64_e64 s[8:9], 0, v[28:29]
	v_xor_b32_e32 v27, s7, v23
	v_xor_b32_e32 v23, s6, v23
	v_and_b32_e32 v3, v3, v25
	v_and_b32_e32 v5, v5, v20
	v_not_b32_e32 v7, v31
	v_cmp_gt_i64_e64 s[10:11], 0, v[30:31]
	v_xor_b32_e32 v28, s9, v24
	v_xor_b32_e32 v24, s8, v24
	v_and_b32_e32 v3, v3, v26
	v_and_b32_e32 v5, v5, v23
	v_ashrrev_i32_e32 v7, 31, v7
	v_lshrrev_b32_e32 v22, 4, v22
	v_and_b32_e32 v3, v3, v27
	v_and_b32_e32 v5, v5, v24
	v_xor_b32_e32 v20, s11, v7
	v_xor_b32_e32 v7, s10, v7
	v_and_b32_e32 v30, 0xffffffc, v22
	v_and_b32_e32 v3, v3, v28
	;; [unrolled: 1-line block ×4, first 2 shown]
	v_mbcnt_lo_u32_b32 v3, v22, 0
	v_mbcnt_hi_u32_b32 v3, v23, v3
	v_cmp_eq_u32_e32 vcc, 0, v3
	v_cmp_ne_u64_e64 s[0:1], 0, v[22:23]
	s_and_b64 s[4:5], s[0:1], vcc
	v_add_u32_e32 v7, v30, v34
	s_and_saveexec_b64 s[0:1], s[4:5]
; %bb.98:
	v_bcnt_u32_b32 v5, v22, 0
	v_bcnt_u32_b32 v5, v23, v5
	ds_write_b32 v7, v5 offset:64
; %bb.99:
	s_or_b64 exec, exec, s[0:1]
	s_waitcnt vmcnt(4)
	v_lshrrev_b64 v[22:23], s44, v[18:19]
	v_and_b32_e32 v25, s14, v22
	v_and_b32_e32 v20, 1, v25
	v_lshl_add_u64 v[22:23], v[20:21], 0, -1
	v_cmp_ne_u32_e32 vcc, 0, v20
	v_mul_lo_u32 v5, v25, s15
	v_add_u32_e32 v24, v30, v5
	v_xor_b32_e32 v22, vcc_lo, v22
	v_xor_b32_e32 v20, vcc_hi, v23
	v_and_b32_e32 v26, exec_lo, v22
	v_lshlrev_b32_e32 v23, 30, v25
	v_mov_b32_e32 v22, v21
	v_cmp_gt_i64_e32 vcc, 0, v[22:23]
	v_not_b32_e32 v22, v23
	v_ashrrev_i32_e32 v22, 31, v22
	v_and_b32_e32 v20, exec_hi, v20
	v_xor_b32_e32 v23, vcc_hi, v22
	v_xor_b32_e32 v22, vcc_lo, v22
	v_and_b32_e32 v20, v20, v23
	v_and_b32_e32 v26, v26, v22
	v_lshlrev_b32_e32 v23, 29, v25
	v_mov_b32_e32 v22, v21
	v_cmp_gt_i64_e32 vcc, 0, v[22:23]
	v_not_b32_e32 v22, v23
	v_ashrrev_i32_e32 v22, 31, v22
	v_xor_b32_e32 v23, vcc_hi, v22
	v_xor_b32_e32 v22, vcc_lo, v22
	v_and_b32_e32 v20, v20, v23
	v_and_b32_e32 v26, v26, v22
	v_lshlrev_b32_e32 v23, 28, v25
	v_mov_b32_e32 v22, v21
	v_cmp_gt_i64_e32 vcc, 0, v[22:23]
	v_not_b32_e32 v22, v23
	v_ashrrev_i32_e32 v22, 31, v22
	;; [unrolled: 9-line block ×3, first 2 shown]
	v_xor_b32_e32 v23, vcc_hi, v22
	v_xor_b32_e32 v22, vcc_lo, v22
	v_and_b32_e32 v20, v20, v23
	v_lshlrev_b32_e32 v23, 26, v25
	v_and_b32_e32 v26, v26, v22
	v_mov_b32_e32 v22, v21
	v_not_b32_e32 v21, v23
	v_cmp_gt_i64_e32 vcc, 0, v[22:23]
	v_ashrrev_i32_e32 v21, 31, v21
	s_nop 0
	v_xor_b32_e32 v22, vcc_hi, v21
	v_xor_b32_e32 v23, vcc_lo, v21
	; wave barrier
	ds_read_b32 v5, v24 offset:64
	v_and_b32_e32 v21, v20, v22
	v_and_b32_e32 v20, v26, v23
	v_mbcnt_lo_u32_b32 v22, v20, 0
	v_mbcnt_hi_u32_b32 v25, v21, v22
	v_cmp_eq_u32_e32 vcc, 0, v25
	v_cmp_ne_u64_e64 s[0:1], 0, v[20:21]
	s_and_b64 s[4:5], s[0:1], vcc
	; wave barrier
	s_and_saveexec_b64 s[0:1], s[4:5]
	s_cbranch_execz .LBB25_101
; %bb.100:
	v_bcnt_u32_b32 v20, v20, 0
	v_bcnt_u32_b32 v20, v21, v20
	s_waitcnt lgkmcnt(0)
	v_add_u32_e32 v20, v5, v20
	ds_write_b32 v24, v20 offset:64
.LBB25_101:
	s_or_b64 exec, exec, s[0:1]
	s_waitcnt vmcnt(3)
	v_lshrrev_b64 v[20:21], s44, v[16:17]
	v_and_b32_e32 v28, s14, v20
	s_movk_i32 s4, 0x44
	v_mul_lo_u32 v20, v28, s4
	v_add_u32_e32 v27, v30, v20
	v_and_b32_e32 v20, 1, v28
	v_mov_b32_e32 v21, 0
	v_lshl_add_u64 v[22:23], v[20:21], 0, -1
	v_cmp_ne_u32_e32 vcc, 0, v20
	; wave barrier
	s_nop 1
	v_xor_b32_e32 v22, vcc_lo, v22
	v_xor_b32_e32 v20, vcc_hi, v23
	v_and_b32_e32 v29, exec_lo, v22
	v_lshlrev_b32_e32 v23, 30, v28
	v_mov_b32_e32 v22, v21
	v_cmp_gt_i64_e32 vcc, 0, v[22:23]
	v_not_b32_e32 v22, v23
	v_ashrrev_i32_e32 v22, 31, v22
	v_and_b32_e32 v20, exec_hi, v20
	v_xor_b32_e32 v23, vcc_hi, v22
	v_xor_b32_e32 v22, vcc_lo, v22
	v_and_b32_e32 v20, v20, v23
	v_and_b32_e32 v29, v29, v22
	v_lshlrev_b32_e32 v23, 29, v28
	v_mov_b32_e32 v22, v21
	v_cmp_gt_i64_e32 vcc, 0, v[22:23]
	v_not_b32_e32 v22, v23
	v_ashrrev_i32_e32 v22, 31, v22
	v_xor_b32_e32 v23, vcc_hi, v22
	v_xor_b32_e32 v22, vcc_lo, v22
	v_and_b32_e32 v20, v20, v23
	v_and_b32_e32 v29, v29, v22
	v_lshlrev_b32_e32 v23, 28, v28
	v_mov_b32_e32 v22, v21
	v_cmp_gt_i64_e32 vcc, 0, v[22:23]
	v_not_b32_e32 v22, v23
	v_ashrrev_i32_e32 v22, 31, v22
	;; [unrolled: 9-line block ×4, first 2 shown]
	v_xor_b32_e32 v23, vcc_hi, v22
	v_xor_b32_e32 v22, vcc_lo, v22
	ds_read_b32 v26, v27 offset:64
	v_and_b32_e32 v22, v29, v22
	v_and_b32_e32 v23, v20, v23
	v_mbcnt_lo_u32_b32 v20, v22, 0
	v_mbcnt_hi_u32_b32 v28, v23, v20
	v_cmp_eq_u32_e32 vcc, 0, v28
	v_cmp_ne_u64_e64 s[0:1], 0, v[22:23]
	s_and_b64 s[6:7], s[0:1], vcc
	; wave barrier
	s_and_saveexec_b64 s[0:1], s[6:7]
	s_cbranch_execz .LBB25_103
; %bb.102:
	v_bcnt_u32_b32 v20, v22, 0
	v_bcnt_u32_b32 v20, v23, v20
	s_waitcnt lgkmcnt(0)
	v_add_u32_e32 v20, v26, v20
	ds_write_b32 v27, v20 offset:64
.LBB25_103:
	s_or_b64 exec, exec, s[0:1]
	s_waitcnt vmcnt(2)
	v_lshrrev_b64 v[22:23], s44, v[14:15]
	v_and_b32_e32 v32, s14, v22
	v_mul_lo_u32 v20, v32, s4
	v_add_u32_e32 v31, v30, v20
	v_and_b32_e32 v20, 1, v32
	v_lshl_add_u64 v[22:23], v[20:21], 0, -1
	v_cmp_ne_u32_e32 vcc, 0, v20
	; wave barrier
	s_nop 1
	v_xor_b32_e32 v22, vcc_lo, v22
	v_xor_b32_e32 v20, vcc_hi, v23
	v_and_b32_e32 v33, exec_lo, v22
	v_lshlrev_b32_e32 v23, 30, v32
	v_mov_b32_e32 v22, v21
	v_cmp_gt_i64_e32 vcc, 0, v[22:23]
	v_not_b32_e32 v22, v23
	v_ashrrev_i32_e32 v22, 31, v22
	v_and_b32_e32 v20, exec_hi, v20
	v_xor_b32_e32 v23, vcc_hi, v22
	v_xor_b32_e32 v22, vcc_lo, v22
	v_and_b32_e32 v20, v20, v23
	v_and_b32_e32 v33, v33, v22
	v_lshlrev_b32_e32 v23, 29, v32
	v_mov_b32_e32 v22, v21
	v_cmp_gt_i64_e32 vcc, 0, v[22:23]
	v_not_b32_e32 v22, v23
	v_ashrrev_i32_e32 v22, 31, v22
	v_xor_b32_e32 v23, vcc_hi, v22
	v_xor_b32_e32 v22, vcc_lo, v22
	v_and_b32_e32 v20, v20, v23
	v_and_b32_e32 v33, v33, v22
	v_lshlrev_b32_e32 v23, 28, v32
	v_mov_b32_e32 v22, v21
	v_cmp_gt_i64_e32 vcc, 0, v[22:23]
	v_not_b32_e32 v22, v23
	v_ashrrev_i32_e32 v22, 31, v22
	;; [unrolled: 9-line block ×3, first 2 shown]
	v_xor_b32_e32 v23, vcc_hi, v22
	v_xor_b32_e32 v22, vcc_lo, v22
	v_and_b32_e32 v20, v20, v23
	v_lshlrev_b32_e32 v23, 26, v32
	v_and_b32_e32 v33, v33, v22
	v_mov_b32_e32 v22, v21
	v_not_b32_e32 v21, v23
	v_cmp_gt_i64_e32 vcc, 0, v[22:23]
	v_ashrrev_i32_e32 v21, 31, v21
	ds_read_b32 v29, v31 offset:64
	v_xor_b32_e32 v22, vcc_hi, v21
	v_xor_b32_e32 v23, vcc_lo, v21
	v_and_b32_e32 v21, v20, v22
	v_and_b32_e32 v20, v33, v23
	v_mbcnt_lo_u32_b32 v22, v20, 0
	v_mbcnt_hi_u32_b32 v32, v21, v22
	v_cmp_eq_u32_e32 vcc, 0, v32
	v_cmp_ne_u64_e64 s[0:1], 0, v[20:21]
	s_and_b64 s[4:5], s[0:1], vcc
	; wave barrier
	s_and_saveexec_b64 s[0:1], s[4:5]
	s_cbranch_execz .LBB25_105
; %bb.104:
	v_bcnt_u32_b32 v20, v20, 0
	v_bcnt_u32_b32 v20, v21, v20
	s_waitcnt lgkmcnt(0)
	v_add_u32_e32 v20, v29, v20
	ds_write_b32 v31, v20 offset:64
.LBB25_105:
	s_or_b64 exec, exec, s[0:1]
	s_waitcnt vmcnt(1)
	v_lshrrev_b64 v[20:21], s44, v[12:13]
	v_and_b32_e32 v35, s14, v20
	s_movk_i32 s4, 0x44
	v_mul_lo_u32 v20, v35, s4
	v_add_u32_e32 v34, v30, v20
	v_and_b32_e32 v20, 1, v35
	v_mov_b32_e32 v21, 0
	v_lshl_add_u64 v[22:23], v[20:21], 0, -1
	v_cmp_ne_u32_e32 vcc, 0, v20
	; wave barrier
	s_nop 1
	v_xor_b32_e32 v22, vcc_lo, v22
	v_xor_b32_e32 v20, vcc_hi, v23
	v_and_b32_e32 v36, exec_lo, v22
	v_lshlrev_b32_e32 v23, 30, v35
	v_mov_b32_e32 v22, v21
	v_cmp_gt_i64_e32 vcc, 0, v[22:23]
	v_not_b32_e32 v22, v23
	v_ashrrev_i32_e32 v22, 31, v22
	v_and_b32_e32 v20, exec_hi, v20
	v_xor_b32_e32 v23, vcc_hi, v22
	v_xor_b32_e32 v22, vcc_lo, v22
	v_and_b32_e32 v20, v20, v23
	v_and_b32_e32 v36, v36, v22
	v_lshlrev_b32_e32 v23, 29, v35
	v_mov_b32_e32 v22, v21
	v_cmp_gt_i64_e32 vcc, 0, v[22:23]
	v_not_b32_e32 v22, v23
	v_ashrrev_i32_e32 v22, 31, v22
	v_xor_b32_e32 v23, vcc_hi, v22
	v_xor_b32_e32 v22, vcc_lo, v22
	v_and_b32_e32 v20, v20, v23
	v_and_b32_e32 v36, v36, v22
	v_lshlrev_b32_e32 v23, 28, v35
	v_mov_b32_e32 v22, v21
	v_cmp_gt_i64_e32 vcc, 0, v[22:23]
	v_not_b32_e32 v22, v23
	v_ashrrev_i32_e32 v22, 31, v22
	v_xor_b32_e32 v23, vcc_hi, v22
	v_xor_b32_e32 v22, vcc_lo, v22
	v_and_b32_e32 v20, v20, v23
	v_and_b32_e32 v36, v36, v22
	v_lshlrev_b32_e32 v23, 27, v35
	v_mov_b32_e32 v22, v21
	v_cmp_gt_i64_e32 vcc, 0, v[22:23]
	v_not_b32_e32 v22, v23
	v_ashrrev_i32_e32 v22, 31, v22
	v_xor_b32_e32 v23, vcc_hi, v22
	v_xor_b32_e32 v22, vcc_lo, v22
	v_and_b32_e32 v20, v20, v23
	v_and_b32_e32 v36, v36, v22
	v_lshlrev_b32_e32 v23, 26, v35
	v_mov_b32_e32 v22, v21
	v_cmp_gt_i64_e32 vcc, 0, v[22:23]
	v_not_b32_e32 v22, v23
	v_ashrrev_i32_e32 v22, 31, v22
	v_xor_b32_e32 v23, vcc_hi, v22
	v_xor_b32_e32 v22, vcc_lo, v22
	ds_read_b32 v33, v34 offset:64
	v_and_b32_e32 v22, v36, v22
	v_and_b32_e32 v23, v20, v23
	v_mbcnt_lo_u32_b32 v20, v22, 0
	v_mbcnt_hi_u32_b32 v35, v23, v20
	v_cmp_eq_u32_e32 vcc, 0, v35
	v_cmp_ne_u64_e64 s[0:1], 0, v[22:23]
	s_and_b64 s[6:7], s[0:1], vcc
	; wave barrier
	s_and_saveexec_b64 s[0:1], s[6:7]
	s_cbranch_execz .LBB25_107
; %bb.106:
	v_bcnt_u32_b32 v20, v22, 0
	v_bcnt_u32_b32 v20, v23, v20
	s_waitcnt lgkmcnt(0)
	v_add_u32_e32 v20, v33, v20
	ds_write_b32 v34, v20 offset:64
.LBB25_107:
	s_or_b64 exec, exec, s[0:1]
	s_waitcnt vmcnt(0)
	v_lshrrev_b64 v[22:23], s44, v[10:11]
	v_and_b32_e32 v38, s14, v22
	v_mul_lo_u32 v20, v38, s4
	v_add_u32_e32 v22, v30, v20
	v_and_b32_e32 v20, 1, v38
	v_lshl_add_u64 v[36:37], v[20:21], 0, -1
	v_cmp_ne_u32_e32 vcc, 0, v20
	; wave barrier
	s_nop 1
	v_xor_b32_e32 v20, vcc_hi, v37
	v_xor_b32_e32 v30, vcc_lo, v36
	v_lshlrev_b32_e32 v37, 30, v38
	v_mov_b32_e32 v36, v21
	v_cmp_gt_i64_e32 vcc, 0, v[36:37]
	v_not_b32_e32 v36, v37
	v_ashrrev_i32_e32 v36, 31, v36
	v_and_b32_e32 v20, exec_hi, v20
	v_and_b32_e32 v30, exec_lo, v30
	v_xor_b32_e32 v37, vcc_hi, v36
	v_xor_b32_e32 v36, vcc_lo, v36
	v_and_b32_e32 v20, v20, v37
	v_and_b32_e32 v30, v30, v36
	v_lshlrev_b32_e32 v37, 29, v38
	v_mov_b32_e32 v36, v21
	v_cmp_gt_i64_e32 vcc, 0, v[36:37]
	v_not_b32_e32 v36, v37
	v_ashrrev_i32_e32 v36, 31, v36
	v_xor_b32_e32 v37, vcc_hi, v36
	v_xor_b32_e32 v36, vcc_lo, v36
	v_and_b32_e32 v20, v20, v37
	v_and_b32_e32 v30, v30, v36
	v_lshlrev_b32_e32 v37, 28, v38
	v_mov_b32_e32 v36, v21
	v_cmp_gt_i64_e32 vcc, 0, v[36:37]
	v_not_b32_e32 v36, v37
	v_ashrrev_i32_e32 v36, 31, v36
	;; [unrolled: 9-line block ×3, first 2 shown]
	v_xor_b32_e32 v37, vcc_hi, v36
	v_xor_b32_e32 v36, vcc_lo, v36
	v_and_b32_e32 v20, v20, v37
	v_lshlrev_b32_e32 v37, 26, v38
	v_and_b32_e32 v30, v30, v36
	v_mov_b32_e32 v36, v21
	v_not_b32_e32 v21, v37
	v_cmp_gt_i64_e32 vcc, 0, v[36:37]
	v_ashrrev_i32_e32 v21, 31, v21
	ds_read_b32 v23, v22 offset:64
	v_xor_b32_e32 v36, vcc_hi, v21
	v_xor_b32_e32 v37, vcc_lo, v21
	v_and_b32_e32 v21, v20, v36
	v_and_b32_e32 v20, v30, v37
	v_mbcnt_lo_u32_b32 v30, v20, 0
	v_mbcnt_hi_u32_b32 v30, v21, v30
	v_cmp_eq_u32_e32 vcc, 0, v30
	v_cmp_ne_u64_e64 s[0:1], 0, v[20:21]
	s_and_b64 s[4:5], s[0:1], vcc
	; wave barrier
	s_and_saveexec_b64 s[0:1], s[4:5]
	s_cbranch_execz .LBB25_109
; %bb.108:
	v_bcnt_u32_b32 v20, v20, 0
	v_bcnt_u32_b32 v20, v21, v20
	s_waitcnt lgkmcnt(0)
	v_add_u32_e32 v20, v23, v20
	ds_write_b32 v22, v20 offset:64
.LBB25_109:
	s_or_b64 exec, exec, s[0:1]
	; wave barrier
	s_waitcnt lgkmcnt(0)
	s_barrier
	ds_read_b64 v[20:21], v0 offset:64
	v_and_b32_e32 v36, 15, v1
	v_cmp_eq_u32_e32 vcc, 0, v36
	v_cmp_lt_u32_e64 s[0:1], 1, v36
	v_cmp_lt_u32_e64 s[6:7], 3, v36
	s_waitcnt lgkmcnt(0)
	v_add_u32_e32 v21, v21, v20
	v_cmp_lt_u32_e64 s[4:5], 7, v36
	v_cmp_lt_u32_e64 s[8:9], 31, v1
	v_mov_b32_dpp v37, v21 row_shr:1 row_mask:0xf bank_mask:0xf
	v_cndmask_b32_e64 v37, v37, 0, vcc
	v_add_u32_e32 v21, v37, v21
	s_nop 1
	v_mov_b32_dpp v37, v21 row_shr:2 row_mask:0xf bank_mask:0xf
	v_cndmask_b32_e64 v37, 0, v37, s[0:1]
	v_add_u32_e32 v21, v21, v37
	s_nop 1
	v_mov_b32_dpp v37, v21 row_shr:4 row_mask:0xf bank_mask:0xf
	v_cndmask_b32_e64 v37, 0, v37, s[6:7]
	;; [unrolled: 4-line block ×3, first 2 shown]
	v_add_u32_e32 v21, v21, v36
	v_bfe_i32 v37, v1, 4, 1
	s_nop 0
	v_mov_b32_dpp v36, v21 row_bcast:15 row_mask:0xf bank_mask:0xf
	v_and_b32_e32 v36, v37, v36
	v_add_u32_e32 v21, v21, v36
	v_and_b32_e32 v37, 63, v6
	s_nop 0
	v_mov_b32_dpp v36, v21 row_bcast:31 row_mask:0xf bank_mask:0xf
	v_cndmask_b32_e64 v36, 0, v36, s[8:9]
	v_add_u32_e32 v21, v21, v36
	v_lshrrev_b32_e32 v36, 6, v6
	v_cmp_eq_u32_e64 s[8:9], 63, v37
	s_and_saveexec_b64 s[10:11], s[8:9]
; %bb.110:
	v_lshlrev_b32_e32 v37, 2, v36
	ds_write_b32 v37, v21
; %bb.111:
	s_or_b64 exec, exec, s[10:11]
	v_cmp_gt_u32_e64 s[8:9], 16, v6
	s_waitcnt lgkmcnt(0)
	s_barrier
	s_and_saveexec_b64 s[10:11], s[8:9]
	s_cbranch_execz .LBB25_113
; %bb.112:
	v_lshlrev_b32_e32 v37, 2, v6
	ds_read_b32 v38, v37
	s_waitcnt lgkmcnt(0)
	s_nop 0
	v_mov_b32_dpp v39, v38 row_shr:1 row_mask:0xf bank_mask:0xf
	v_cndmask_b32_e64 v39, v39, 0, vcc
	v_add_u32_e32 v38, v39, v38
	s_nop 1
	v_mov_b32_dpp v39, v38 row_shr:2 row_mask:0xf bank_mask:0xf
	v_cndmask_b32_e64 v39, 0, v39, s[0:1]
	v_add_u32_e32 v38, v38, v39
	s_nop 1
	v_mov_b32_dpp v39, v38 row_shr:4 row_mask:0xf bank_mask:0xf
	v_cndmask_b32_e64 v39, 0, v39, s[6:7]
	;; [unrolled: 4-line block ×3, first 2 shown]
	v_add_u32_e32 v38, v38, v39
	ds_write_b32 v37, v38
.LBB25_113:
	s_or_b64 exec, exec, s[10:11]
	v_cmp_gt_u32_e64 s[0:1], 64, v6
	v_cmp_lt_u32_e32 vcc, 63, v6
	v_mov_b32_e32 v37, 0
	s_waitcnt lgkmcnt(0)
	s_barrier
	s_and_saveexec_b64 s[4:5], vcc
; %bb.114:
	v_lshl_add_u32 v36, v36, 2, -4
	ds_read_b32 v37, v36
; %bb.115:
	s_or_b64 exec, exec, s[4:5]
	v_add_u32_e32 v36, -1, v1
	v_and_b32_e32 v38, 64, v1
	v_cmp_lt_i32_e64 s[4:5], v36, v38
	s_waitcnt lgkmcnt(0)
	v_add_u32_e32 v21, v37, v21
	v_cndmask_b32_e64 v36, v36, v1, s[4:5]
	v_lshlrev_b32_e32 v36, 2, v36
	ds_bpermute_b32 v21, v36, v21
	v_cmp_eq_u32_e64 s[4:5], 0, v1
	s_waitcnt lgkmcnt(0)
	s_nop 0
	v_cndmask_b32_e64 v1, v21, v37, s[4:5]
	v_cmp_ne_u32_e64 s[4:5], 0, v6
	s_nop 1
	v_cndmask_b32_e64 v36, 0, v1, s[4:5]
	v_add_u32_e32 v37, v36, v20
	ds_write_b64 v0, v[36:37] offset:64
	s_waitcnt lgkmcnt(0)
	s_barrier
	ds_read_b32 v7, v7 offset:64
	ds_read_b32 v24, v24 offset:64
	;; [unrolled: 1-line block ×6, first 2 shown]
	v_mov_b64_e32 v[20:21], 0
                                        ; implicit-def: $vgpr22
	s_and_saveexec_b64 s[6:7], s[0:1]
	s_cbranch_execz .LBB25_119
; %bb.116:
	v_mul_u32_u24_e32 v20, 0x44, v6
	ds_read_b32 v20, v20 offset:64
	v_add_u32_e32 v22, 1, v6
	v_cmp_ne_u32_e64 s[4:5], 64, v22
	v_mov_b32_e32 v21, 0x1800
	s_and_saveexec_b64 s[8:9], s[4:5]
; %bb.117:
	v_mul_u32_u24_e32 v21, 0x44, v22
	ds_read_b32 v21, v21 offset:64
; %bb.118:
	s_or_b64 exec, exec, s[8:9]
	s_waitcnt lgkmcnt(0)
	v_sub_u32_e32 v22, v21, v20
	v_mov_b32_e32 v21, 0
.LBB25_119:
	s_or_b64 exec, exec, s[6:7]
	v_lshlrev_b32_e32 v3, 3, v3
	s_waitcnt lgkmcnt(5)
	v_lshl_add_u32 v7, v7, 3, v3
	s_waitcnt lgkmcnt(0)
	s_barrier
	ds_write_b64 v7, v[8:9] offset:512
	v_lshlrev_b32_e32 v3, 3, v25
	v_lshlrev_b32_e32 v5, 3, v5
	;; [unrolled: 1-line block ×3, first 2 shown]
	v_add3_u32 v24, v3, v5, v8
	v_lshlrev_b32_e32 v3, 3, v28
	v_lshlrev_b32_e32 v5, 3, v26
	v_lshlrev_b32_e32 v8, 3, v36
	ds_write_b64 v24, v[18:19] offset:512
	v_add3_u32 v18, v3, v5, v8
	v_lshlrev_b32_e32 v3, 3, v32
	v_lshlrev_b32_e32 v5, 3, v29
	v_lshlrev_b32_e32 v8, 3, v31
	ds_write_b64 v18, v[16:17] offset:512
	;; [unrolled: 5-line block ×3, first 2 shown]
	v_add3_u32 v14, v3, v5, v8
	v_lshlrev_b32_e32 v3, 3, v30
	v_lshlrev_b32_e32 v5, 3, v23
	;; [unrolled: 1-line block ×3, first 2 shown]
	v_add3_u32 v15, v3, v5, v1
	v_mov_b32_e32 v9, 0
	ds_write_b64 v14, v[12:13] offset:512
	ds_write_b64 v15, v[10:11] offset:512
	s_waitcnt lgkmcnt(0)
	s_barrier
	s_and_saveexec_b64 s[4:5], s[0:1]
	s_cbranch_execz .LBB25_129
; %bb.120:
	v_lshl_add_u32 v8, s2, 6, v6
	v_lshl_add_u64 v[10:11], v[8:9], 2, s[34:35]
	v_or_b32_e32 v1, 2.0, v22
	global_store_dword v[10:11], v1, off sc1
	s_mov_b64 s[6:7], 0
	s_brev_b32 s15, -4
	s_mov_b32 s16, s2
	v_mov_b32_e32 v1, 0
                                        ; implicit-def: $sgpr0_sgpr1
	s_branch .LBB25_123
.LBB25_121:                             ;   in Loop: Header=BB25_123 Depth=1
	s_or_b64 exec, exec, s[10:11]
.LBB25_122:                             ;   in Loop: Header=BB25_123 Depth=1
	s_or_b64 exec, exec, s[8:9]
	v_and_b32_e32 v5, 0x3fffffff, v3
	v_add_u32_e32 v1, v5, v1
	v_cmp_gt_i32_e64 s[0:1], -2.0, v3
	s_and_b64 s[8:9], exec, s[0:1]
	s_or_b64 s[6:7], s[8:9], s[6:7]
	s_andn2_b64 exec, exec, s[6:7]
	s_cbranch_execz .LBB25_128
.LBB25_123:                             ; =>This Loop Header: Depth=1
                                        ;     Child Loop BB25_126 Depth 2
	s_or_b64 s[0:1], s[0:1], exec
	s_cmp_eq_u32 s16, 0
	s_cbranch_scc1 .LBB25_127
; %bb.124:                              ;   in Loop: Header=BB25_123 Depth=1
	s_add_i32 s16, s16, -1
	v_lshl_or_b32 v8, s16, 6, v6
	v_lshl_add_u64 v[12:13], v[8:9], 2, s[34:35]
	global_load_dword v3, v[12:13], off sc1
	s_waitcnt vmcnt(0)
	v_cmp_gt_u32_e64 s[0:1], 2.0, v3
	s_and_saveexec_b64 s[8:9], s[0:1]
	s_cbranch_execz .LBB25_122
; %bb.125:                              ;   in Loop: Header=BB25_123 Depth=1
	s_mov_b64 s[10:11], 0
.LBB25_126:                             ;   Parent Loop BB25_123 Depth=1
                                        ; =>  This Inner Loop Header: Depth=2
	global_load_dword v3, v[12:13], off sc1
	s_waitcnt vmcnt(0)
	v_cmp_lt_u32_e64 s[0:1], s15, v3
	s_or_b64 s[10:11], s[0:1], s[10:11]
	s_andn2_b64 exec, exec, s[10:11]
	s_cbranch_execnz .LBB25_126
	s_branch .LBB25_121
.LBB25_127:                             ;   in Loop: Header=BB25_123 Depth=1
                                        ; implicit-def: $sgpr16
	s_and_b64 s[8:9], exec, s[0:1]
	s_or_b64 s[6:7], s[8:9], s[6:7]
	s_andn2_b64 exec, exec, s[6:7]
	s_cbranch_execnz .LBB25_123
.LBB25_128:
	s_or_b64 exec, exec, s[6:7]
	v_add_u32_e32 v3, v1, v22
	v_or_b32_e32 v3, 0x80000000, v3
	global_store_dword v[10:11], v3, off sc1
	global_load_dwordx2 v[8:9], v0, s[28:29]
	v_sub_co_u32_e64 v10, s[0:1], v1, v20
	s_nop 1
	v_subb_co_u32_e64 v11, s[0:1], 0, v21, s[0:1]
	s_waitcnt vmcnt(0)
	v_lshl_add_u64 v[8:9], v[10:11], 0, v[8:9]
	ds_write_b64 v0, v[8:9]
.LBB25_129:
	s_or_b64 exec, exec, s[4:5]
	s_waitcnt lgkmcnt(0)
	s_barrier
	ds_read2st64_b64 v[8:11], v0 offset0:1 offset1:17
	ds_read2st64_b64 v[26:29], v0 offset0:33 offset1:49
	s_add_u32 s0, s40, s12
	s_addc_u32 s1, s41, s13
	s_add_i32 s3, s3, -1
	s_waitcnt lgkmcnt(1)
	v_lshrrev_b64 v[12:13], s44, v[8:9]
	v_and_b32_e32 v1, s14, v12
	v_lshlrev_b32_e32 v17, 3, v1
	ds_read_b64 v[12:13], v17
	v_lshrrev_b64 v[30:31], s44, v[10:11]
	v_and_b32_e32 v1, s14, v30
	s_waitcnt lgkmcnt(1)
	v_lshrrev_b64 v[30:31], s44, v[26:27]
	v_lshlrev_b32_e32 v19, 3, v1
	v_and_b32_e32 v1, s14, v30
	v_lshrrev_b64 v[30:31], s44, v[28:29]
	v_lshlrev_b32_e32 v23, 3, v1
	v_and_b32_e32 v1, s14, v30
	v_lshlrev_b32_e32 v25, 3, v1
	ds_read_b64 v[30:31], v19
	ds_read_b64 v[32:33], v23
	;; [unrolled: 1-line block ×3, first 2 shown]
	s_waitcnt lgkmcnt(3)
	v_lshl_add_u64 v[12:13], v[12:13], 3, s[38:39]
	v_mov_b32_e32 v1, 0
	v_lshl_add_u64 v[12:13], v[12:13], 0, v[0:1]
	global_store_dwordx2 v[12:13], v[8:9], off
	s_waitcnt lgkmcnt(2)
	v_lshl_add_u64 v[8:9], v[30:31], 3, s[38:39]
	v_or_b32_e32 v30, 0x2000, v0
	v_mov_b32_e32 v31, v1
	v_lshl_add_u64 v[8:9], v[8:9], 0, v[30:31]
	global_store_dwordx2 v[8:9], v[10:11], off
	s_waitcnt lgkmcnt(1)
	v_lshl_add_u64 v[8:9], v[32:33], 3, s[38:39]
	v_or_b32_e32 v32, 0x4000, v0
	v_mov_b32_e32 v33, v1
	v_lshl_add_u64 v[8:9], v[8:9], 0, v[32:33]
	global_store_dwordx2 v[8:9], v[26:27], off
	ds_read2st64_b64 v[8:11], v0 offset0:65 offset1:81
	s_waitcnt lgkmcnt(1)
	v_lshl_add_u64 v[12:13], v[34:35], 3, s[38:39]
	v_or_b32_e32 v26, 0x6000, v0
	v_mov_b32_e32 v27, v1
	v_lshl_add_u64 v[12:13], v[12:13], 0, v[26:27]
	global_store_dwordx2 v[12:13], v[28:29], off
	s_waitcnt lgkmcnt(0)
	v_lshrrev_b64 v[12:13], s44, v[8:9]
	v_and_b32_e32 v3, s14, v12
	v_lshlrev_b32_e32 v40, 3, v3
	v_lshrrev_b64 v[28:29], s44, v[10:11]
	ds_read_b64 v[12:13], v40
	v_and_b32_e32 v3, s14, v28
	v_lshlrev_b32_e32 v41, 3, v3
	ds_read_b64 v[28:29], v41
	v_or_b32_e32 v34, 0x8000, v0
	s_waitcnt lgkmcnt(1)
	v_lshl_add_u64 v[12:13], v[12:13], 3, s[38:39]
	v_mov_b32_e32 v35, v1
	v_lshl_add_u64 v[12:13], v[12:13], 0, v[34:35]
	global_store_dwordx2 v[12:13], v[8:9], off
	s_waitcnt lgkmcnt(0)
	v_lshl_add_u64 v[8:9], v[28:29], 3, s[38:39]
	v_or_b32_e32 v28, 0xa000, v0
	v_mov_b32_e32 v29, v1
	v_mov_b32_e32 v3, v1
	v_lshl_add_u64 v[8:9], v[8:9], 0, v[28:29]
	v_lshl_add_u64 v[2:3], s[0:1], 0, v[2:3]
	v_mov_b32_e32 v5, v1
	global_store_dwordx2 v[8:9], v[10:11], off
	v_lshl_add_u64 v[2:3], v[2:3], 0, v[4:5]
	global_load_dwordx2 v[4:5], v[2:3], off
	global_load_dwordx2 v[8:9], v[2:3], off offset:512
	global_load_dwordx2 v[10:11], v[2:3], off offset:1024
	;; [unrolled: 1-line block ×5, first 2 shown]
	s_barrier
	s_cmp_eq_u32 s2, s3
	s_cselect_b64 s[0:1], -1, 0
	s_xor_b64 s[2:3], vcc, -1
	s_and_b64 s[0:1], s[2:3], s[0:1]
	s_waitcnt vmcnt(5)
	ds_write_b64 v7, v[4:5] offset:512
	s_waitcnt vmcnt(4)
	ds_write_b64 v24, v[8:9] offset:512
	s_waitcnt vmcnt(3)
	ds_write_b64 v18, v[10:11] offset:512
	s_waitcnt vmcnt(2)
	ds_write_b64 v16, v[12:13] offset:512
	s_waitcnt vmcnt(1)
	ds_write_b64 v14, v[36:37] offset:512
	s_waitcnt vmcnt(0)
	ds_write_b64 v15, v[38:39] offset:512
	s_waitcnt lgkmcnt(0)
	s_barrier
	ds_read2st64_b64 v[2:5], v0 offset0:1 offset1:17
	ds_read2st64_b64 v[6:9], v0 offset0:33 offset1:49
	ds_read_b64 v[14:15], v17
	ds_read_b64 v[16:17], v19
	;; [unrolled: 1-line block ×4, first 2 shown]
	ds_read2st64_b64 v[10:13], v0 offset0:65 offset1:81
	ds_read_b64 v[36:37], v40
	ds_read_b64 v[38:39], v41
	s_waitcnt lgkmcnt(6)
	v_lshl_add_u64 v[14:15], v[14:15], 3, s[42:43]
	s_waitcnt lgkmcnt(5)
	v_lshl_add_u64 v[16:17], v[16:17], 3, s[42:43]
	;; [unrolled: 2-line block ×4, first 2 shown]
	v_lshl_add_u64 v[14:15], v[14:15], 0, v[0:1]
	v_lshl_add_u64 v[16:17], v[16:17], 0, v[30:31]
	;; [unrolled: 1-line block ×4, first 2 shown]
	global_store_dwordx2 v[14:15], v[2:3], off
	global_store_dwordx2 v[16:17], v[4:5], off
	;; [unrolled: 1-line block ×4, first 2 shown]
	s_waitcnt lgkmcnt(1)
	v_lshl_add_u64 v[2:3], v[36:37], 3, s[42:43]
	v_lshl_add_u64 v[2:3], v[2:3], 0, v[34:35]
	global_store_dwordx2 v[2:3], v[10:11], off
	s_waitcnt lgkmcnt(0)
	v_lshl_add_u64 v[2:3], v[38:39], 3, s[42:43]
	v_lshl_add_u64 v[2:3], v[2:3], 0, v[28:29]
	global_store_dwordx2 v[2:3], v[12:13], off
	s_and_saveexec_b64 s[2:3], s[0:1]
	s_cbranch_execz .LBB25_131
; %bb.130:
	ds_read_b64 v[2:3], v0
	v_mov_b32_e32 v23, v1
	v_lshl_add_u64 v[4:5], v[20:21], 0, v[22:23]
	s_waitcnt lgkmcnt(0)
	v_lshl_add_u64 v[2:3], v[4:5], 0, v[2:3]
	global_store_dwordx2 v0, v[2:3], s[30:31]
.LBB25_131:
	s_endpgm
	.section	.rodata,"a",@progbits
	.p2align	6, 0x0
	.amdhsa_kernel _ZN7rocprim17ROCPRIM_304000_NS6detail25onesweep_iteration_kernelINS1_34wrapped_radix_sort_onesweep_configINS0_14default_configEmN2at4cuda3cub6detail10OpaqueTypeILi8EEEEELb0EPmSC_PSA_SD_mNS0_19identity_decomposerEEEvT1_T2_T3_T4_jPT5_SK_PNS1_23onesweep_lookback_stateET6_jjj
		.amdhsa_group_segment_fixed_size 49664
		.amdhsa_private_segment_fixed_size 0
		.amdhsa_kernarg_size 336
		.amdhsa_user_sgpr_count 2
		.amdhsa_user_sgpr_dispatch_ptr 0
		.amdhsa_user_sgpr_queue_ptr 0
		.amdhsa_user_sgpr_kernarg_segment_ptr 1
		.amdhsa_user_sgpr_dispatch_id 0
		.amdhsa_user_sgpr_kernarg_preload_length 0
		.amdhsa_user_sgpr_kernarg_preload_offset 0
		.amdhsa_user_sgpr_private_segment_size 0
		.amdhsa_uses_dynamic_stack 0
		.amdhsa_enable_private_segment 0
		.amdhsa_system_sgpr_workgroup_id_x 1
		.amdhsa_system_sgpr_workgroup_id_y 0
		.amdhsa_system_sgpr_workgroup_id_z 0
		.amdhsa_system_sgpr_workgroup_info 0
		.amdhsa_system_vgpr_workitem_id 2
		.amdhsa_next_free_vgpr 42
		.amdhsa_next_free_sgpr 52
		.amdhsa_accum_offset 44
		.amdhsa_reserve_vcc 1
		.amdhsa_float_round_mode_32 0
		.amdhsa_float_round_mode_16_64 0
		.amdhsa_float_denorm_mode_32 3
		.amdhsa_float_denorm_mode_16_64 3
		.amdhsa_dx10_clamp 1
		.amdhsa_ieee_mode 1
		.amdhsa_fp16_overflow 0
		.amdhsa_tg_split 0
		.amdhsa_exception_fp_ieee_invalid_op 0
		.amdhsa_exception_fp_denorm_src 0
		.amdhsa_exception_fp_ieee_div_zero 0
		.amdhsa_exception_fp_ieee_overflow 0
		.amdhsa_exception_fp_ieee_underflow 0
		.amdhsa_exception_fp_ieee_inexact 0
		.amdhsa_exception_int_div_zero 0
	.end_amdhsa_kernel
	.section	.text._ZN7rocprim17ROCPRIM_304000_NS6detail25onesweep_iteration_kernelINS1_34wrapped_radix_sort_onesweep_configINS0_14default_configEmN2at4cuda3cub6detail10OpaqueTypeILi8EEEEELb0EPmSC_PSA_SD_mNS0_19identity_decomposerEEEvT1_T2_T3_T4_jPT5_SK_PNS1_23onesweep_lookback_stateET6_jjj,"axG",@progbits,_ZN7rocprim17ROCPRIM_304000_NS6detail25onesweep_iteration_kernelINS1_34wrapped_radix_sort_onesweep_configINS0_14default_configEmN2at4cuda3cub6detail10OpaqueTypeILi8EEEEELb0EPmSC_PSA_SD_mNS0_19identity_decomposerEEEvT1_T2_T3_T4_jPT5_SK_PNS1_23onesweep_lookback_stateET6_jjj,comdat
.Lfunc_end25:
	.size	_ZN7rocprim17ROCPRIM_304000_NS6detail25onesweep_iteration_kernelINS1_34wrapped_radix_sort_onesweep_configINS0_14default_configEmN2at4cuda3cub6detail10OpaqueTypeILi8EEEEELb0EPmSC_PSA_SD_mNS0_19identity_decomposerEEEvT1_T2_T3_T4_jPT5_SK_PNS1_23onesweep_lookback_stateET6_jjj, .Lfunc_end25-_ZN7rocprim17ROCPRIM_304000_NS6detail25onesweep_iteration_kernelINS1_34wrapped_radix_sort_onesweep_configINS0_14default_configEmN2at4cuda3cub6detail10OpaqueTypeILi8EEEEELb0EPmSC_PSA_SD_mNS0_19identity_decomposerEEEvT1_T2_T3_T4_jPT5_SK_PNS1_23onesweep_lookback_stateET6_jjj
                                        ; -- End function
	.set _ZN7rocprim17ROCPRIM_304000_NS6detail25onesweep_iteration_kernelINS1_34wrapped_radix_sort_onesweep_configINS0_14default_configEmN2at4cuda3cub6detail10OpaqueTypeILi8EEEEELb0EPmSC_PSA_SD_mNS0_19identity_decomposerEEEvT1_T2_T3_T4_jPT5_SK_PNS1_23onesweep_lookback_stateET6_jjj.num_vgpr, 42
	.set _ZN7rocprim17ROCPRIM_304000_NS6detail25onesweep_iteration_kernelINS1_34wrapped_radix_sort_onesweep_configINS0_14default_configEmN2at4cuda3cub6detail10OpaqueTypeILi8EEEEELb0EPmSC_PSA_SD_mNS0_19identity_decomposerEEEvT1_T2_T3_T4_jPT5_SK_PNS1_23onesweep_lookback_stateET6_jjj.num_agpr, 0
	.set _ZN7rocprim17ROCPRIM_304000_NS6detail25onesweep_iteration_kernelINS1_34wrapped_radix_sort_onesweep_configINS0_14default_configEmN2at4cuda3cub6detail10OpaqueTypeILi8EEEEELb0EPmSC_PSA_SD_mNS0_19identity_decomposerEEEvT1_T2_T3_T4_jPT5_SK_PNS1_23onesweep_lookback_stateET6_jjj.numbered_sgpr, 52
	.set _ZN7rocprim17ROCPRIM_304000_NS6detail25onesweep_iteration_kernelINS1_34wrapped_radix_sort_onesweep_configINS0_14default_configEmN2at4cuda3cub6detail10OpaqueTypeILi8EEEEELb0EPmSC_PSA_SD_mNS0_19identity_decomposerEEEvT1_T2_T3_T4_jPT5_SK_PNS1_23onesweep_lookback_stateET6_jjj.num_named_barrier, 0
	.set _ZN7rocprim17ROCPRIM_304000_NS6detail25onesweep_iteration_kernelINS1_34wrapped_radix_sort_onesweep_configINS0_14default_configEmN2at4cuda3cub6detail10OpaqueTypeILi8EEEEELb0EPmSC_PSA_SD_mNS0_19identity_decomposerEEEvT1_T2_T3_T4_jPT5_SK_PNS1_23onesweep_lookback_stateET6_jjj.private_seg_size, 0
	.set _ZN7rocprim17ROCPRIM_304000_NS6detail25onesweep_iteration_kernelINS1_34wrapped_radix_sort_onesweep_configINS0_14default_configEmN2at4cuda3cub6detail10OpaqueTypeILi8EEEEELb0EPmSC_PSA_SD_mNS0_19identity_decomposerEEEvT1_T2_T3_T4_jPT5_SK_PNS1_23onesweep_lookback_stateET6_jjj.uses_vcc, 1
	.set _ZN7rocprim17ROCPRIM_304000_NS6detail25onesweep_iteration_kernelINS1_34wrapped_radix_sort_onesweep_configINS0_14default_configEmN2at4cuda3cub6detail10OpaqueTypeILi8EEEEELb0EPmSC_PSA_SD_mNS0_19identity_decomposerEEEvT1_T2_T3_T4_jPT5_SK_PNS1_23onesweep_lookback_stateET6_jjj.uses_flat_scratch, 0
	.set _ZN7rocprim17ROCPRIM_304000_NS6detail25onesweep_iteration_kernelINS1_34wrapped_radix_sort_onesweep_configINS0_14default_configEmN2at4cuda3cub6detail10OpaqueTypeILi8EEEEELb0EPmSC_PSA_SD_mNS0_19identity_decomposerEEEvT1_T2_T3_T4_jPT5_SK_PNS1_23onesweep_lookback_stateET6_jjj.has_dyn_sized_stack, 0
	.set _ZN7rocprim17ROCPRIM_304000_NS6detail25onesweep_iteration_kernelINS1_34wrapped_radix_sort_onesweep_configINS0_14default_configEmN2at4cuda3cub6detail10OpaqueTypeILi8EEEEELb0EPmSC_PSA_SD_mNS0_19identity_decomposerEEEvT1_T2_T3_T4_jPT5_SK_PNS1_23onesweep_lookback_stateET6_jjj.has_recursion, 0
	.set _ZN7rocprim17ROCPRIM_304000_NS6detail25onesweep_iteration_kernelINS1_34wrapped_radix_sort_onesweep_configINS0_14default_configEmN2at4cuda3cub6detail10OpaqueTypeILi8EEEEELb0EPmSC_PSA_SD_mNS0_19identity_decomposerEEEvT1_T2_T3_T4_jPT5_SK_PNS1_23onesweep_lookback_stateET6_jjj.has_indirect_call, 0
	.section	.AMDGPU.csdata,"",@progbits
; Kernel info:
; codeLenInByte = 9764
; TotalNumSgprs: 58
; NumVgprs: 42
; NumAgprs: 0
; TotalNumVgprs: 42
; ScratchSize: 0
; MemoryBound: 0
; FloatMode: 240
; IeeeMode: 1
; LDSByteSize: 49664 bytes/workgroup (compile time only)
; SGPRBlocks: 7
; VGPRBlocks: 5
; NumSGPRsForWavesPerEU: 58
; NumVGPRsForWavesPerEU: 42
; AccumOffset: 44
; Occupancy: 8
; WaveLimiterHint : 1
; COMPUTE_PGM_RSRC2:SCRATCH_EN: 0
; COMPUTE_PGM_RSRC2:USER_SGPR: 2
; COMPUTE_PGM_RSRC2:TRAP_HANDLER: 0
; COMPUTE_PGM_RSRC2:TGID_X_EN: 1
; COMPUTE_PGM_RSRC2:TGID_Y_EN: 0
; COMPUTE_PGM_RSRC2:TGID_Z_EN: 0
; COMPUTE_PGM_RSRC2:TIDIG_COMP_CNT: 2
; COMPUTE_PGM_RSRC3_GFX90A:ACCUM_OFFSET: 10
; COMPUTE_PGM_RSRC3_GFX90A:TG_SPLIT: 0
	.section	.AMDGPU.gpr_maximums,"",@progbits
	.set amdgpu.max_num_vgpr, 0
	.set amdgpu.max_num_agpr, 0
	.set amdgpu.max_num_sgpr, 0
	.section	.AMDGPU.csdata,"",@progbits
	.type	__hip_cuid_4012e0dddb48a96e,@object ; @__hip_cuid_4012e0dddb48a96e
	.section	.bss,"aw",@nobits
	.globl	__hip_cuid_4012e0dddb48a96e
__hip_cuid_4012e0dddb48a96e:
	.byte	0                               ; 0x0
	.size	__hip_cuid_4012e0dddb48a96e, 1

	.ident	"AMD clang version 22.0.0git (https://github.com/RadeonOpenCompute/llvm-project roc-7.2.4 26084 f58b06dce1f9c15707c5f808fd002e18c2accf7e)"
	.section	".note.GNU-stack","",@progbits
	.addrsig
	.addrsig_sym __hip_cuid_4012e0dddb48a96e
	.amdgpu_metadata
---
amdhsa.kernels:
  - .agpr_count:     0
    .args:
      - .address_space:  global
        .offset:         0
        .size:           8
        .value_kind:     global_buffer
      - .address_space:  global
        .offset:         8
        .size:           8
        .value_kind:     global_buffer
      - .address_space:  global
        .offset:         16
        .size:           8
        .value_kind:     global_buffer
      - .address_space:  global
        .offset:         24
        .size:           8
        .value_kind:     global_buffer
      - .offset:         32
        .size:           4
        .value_kind:     by_value
      - .offset:         36
        .size:           1
        .value_kind:     by_value
      - .offset:         40
        .size:           4
        .value_kind:     by_value
      - .offset:         44
        .size:           4
        .value_kind:     by_value
      - .offset:         48
        .size:           4
        .value_kind:     hidden_block_count_x
      - .offset:         52
        .size:           4
        .value_kind:     hidden_block_count_y
      - .offset:         56
        .size:           4
        .value_kind:     hidden_block_count_z
      - .offset:         60
        .size:           2
        .value_kind:     hidden_group_size_x
      - .offset:         62
        .size:           2
        .value_kind:     hidden_group_size_y
      - .offset:         64
        .size:           2
        .value_kind:     hidden_group_size_z
      - .offset:         66
        .size:           2
        .value_kind:     hidden_remainder_x
      - .offset:         68
        .size:           2
        .value_kind:     hidden_remainder_y
      - .offset:         70
        .size:           2
        .value_kind:     hidden_remainder_z
      - .offset:         88
        .size:           8
        .value_kind:     hidden_global_offset_x
      - .offset:         96
        .size:           8
        .value_kind:     hidden_global_offset_y
      - .offset:         104
        .size:           8
        .value_kind:     hidden_global_offset_z
      - .offset:         112
        .size:           2
        .value_kind:     hidden_grid_dims
    .group_segment_fixed_size: 8192
    .kernarg_segment_align: 8
    .kernarg_segment_size: 304
    .language:       OpenCL C
    .language_version:
      - 2
      - 0
    .max_flat_workgroup_size: 256
    .name:           _ZN7rocprim17ROCPRIM_304000_NS6detail28radix_sort_block_sort_kernelINS1_36wrapped_radix_sort_block_sort_configINS0_13kernel_configILj256ELj4ELj4294967295EEEmN2at4cuda3cub6detail10OpaqueTypeILi8EEEEELb1EPKmPmPKSB_PSB_NS0_19identity_decomposerEEEvT1_T2_T3_T4_jT5_jj
    .private_segment_fixed_size: 0
    .sgpr_count:     50
    .sgpr_spill_count: 0
    .symbol:         _ZN7rocprim17ROCPRIM_304000_NS6detail28radix_sort_block_sort_kernelINS1_36wrapped_radix_sort_block_sort_configINS0_13kernel_configILj256ELj4ELj4294967295EEEmN2at4cuda3cub6detail10OpaqueTypeILi8EEEEELb1EPKmPmPKSB_PSB_NS0_19identity_decomposerEEEvT1_T2_T3_T4_jT5_jj.kd
    .uniform_work_group_size: 1
    .uses_dynamic_stack: false
    .vgpr_count:     50
    .vgpr_spill_count: 0
    .wavefront_size: 64
  - .agpr_count:     0
    .args:           []
    .group_segment_fixed_size: 0
    .kernarg_segment_align: 4
    .kernarg_segment_size: 0
    .language:       OpenCL C
    .language_version:
      - 2
      - 0
    .max_flat_workgroup_size: 1024
    .name:           _ZN7rocprim17ROCPRIM_304000_NS6detail39device_merge_sort_compile_time_verifierINS1_36wrapped_merge_sort_block_sort_configINS1_28merge_sort_block_sort_configILj256ELj4ELNS0_20block_sort_algorithmE0EEEmN2at4cuda3cub6detail10OpaqueTypeILi8EEEEENS1_37wrapped_merge_sort_block_merge_configINS0_14default_configEmSC_EEEEvv
    .private_segment_fixed_size: 0
    .sgpr_count:     6
    .sgpr_spill_count: 0
    .symbol:         _ZN7rocprim17ROCPRIM_304000_NS6detail39device_merge_sort_compile_time_verifierINS1_36wrapped_merge_sort_block_sort_configINS1_28merge_sort_block_sort_configILj256ELj4ELNS0_20block_sort_algorithmE0EEEmN2at4cuda3cub6detail10OpaqueTypeILi8EEEEENS1_37wrapped_merge_sort_block_merge_configINS0_14default_configEmSC_EEEEvv.kd
    .uniform_work_group_size: 1
    .uses_dynamic_stack: false
    .vgpr_count:     0
    .vgpr_spill_count: 0
    .wavefront_size: 64
  - .agpr_count:     0
    .args:
      - .address_space:  global
        .offset:         0
        .size:           8
        .value_kind:     global_buffer
      - .offset:         8
        .size:           4
        .value_kind:     by_value
      - .offset:         12
        .size:           4
        .value_kind:     by_value
      - .address_space:  global
        .offset:         16
        .size:           8
        .value_kind:     global_buffer
      - .offset:         24
        .size:           1
        .value_kind:     by_value
      - .offset:         28
        .size:           4
        .value_kind:     by_value
    .group_segment_fixed_size: 0
    .kernarg_segment_align: 8
    .kernarg_segment_size: 32
    .language:       OpenCL C
    .language_version:
      - 2
      - 0
    .max_flat_workgroup_size: 128
    .name:           _ZN7rocprim17ROCPRIM_304000_NS6detail45device_block_merge_mergepath_partition_kernelINS1_37wrapped_merge_sort_block_merge_configINS0_14default_configEmN2at4cuda3cub6detail10OpaqueTypeILi8EEEEEPmjNS1_19radix_merge_compareILb1ELb0EmNS0_19identity_decomposerEEEEEvT0_T1_jPSH_T2_SH_
    .private_segment_fixed_size: 0
    .sgpr_count:     12
    .sgpr_spill_count: 0
    .symbol:         _ZN7rocprim17ROCPRIM_304000_NS6detail45device_block_merge_mergepath_partition_kernelINS1_37wrapped_merge_sort_block_merge_configINS0_14default_configEmN2at4cuda3cub6detail10OpaqueTypeILi8EEEEEPmjNS1_19radix_merge_compareILb1ELb0EmNS0_19identity_decomposerEEEEEvT0_T1_jPSH_T2_SH_.kd
    .uniform_work_group_size: 1
    .uses_dynamic_stack: false
    .vgpr_count:     20
    .vgpr_spill_count: 0
    .wavefront_size: 64
  - .agpr_count:     0
    .args:
      - .address_space:  global
        .offset:         0
        .size:           8
        .value_kind:     global_buffer
      - .address_space:  global
        .offset:         8
        .size:           8
        .value_kind:     global_buffer
      - .address_space:  global
        .offset:         16
        .size:           8
        .value_kind:     global_buffer
      - .address_space:  global
        .offset:         24
        .size:           8
        .value_kind:     global_buffer
      - .offset:         32
        .size:           4
        .value_kind:     by_value
      - .offset:         36
        .size:           4
        .value_kind:     by_value
      - .offset:         40
        .size:           4
        .value_kind:     by_value
      - .offset:         44
        .size:           1
        .value_kind:     by_value
      - .address_space:  global
        .offset:         48
        .size:           8
        .value_kind:     global_buffer
      - .address_space:  global
        .offset:         56
        .size:           8
        .value_kind:     global_buffer
      - .offset:         64
        .size:           4
        .value_kind:     hidden_block_count_x
      - .offset:         68
        .size:           4
        .value_kind:     hidden_block_count_y
      - .offset:         72
        .size:           4
        .value_kind:     hidden_block_count_z
      - .offset:         76
        .size:           2
        .value_kind:     hidden_group_size_x
      - .offset:         78
        .size:           2
        .value_kind:     hidden_group_size_y
      - .offset:         80
        .size:           2
        .value_kind:     hidden_group_size_z
      - .offset:         82
        .size:           2
        .value_kind:     hidden_remainder_x
      - .offset:         84
        .size:           2
        .value_kind:     hidden_remainder_y
      - .offset:         86
        .size:           2
        .value_kind:     hidden_remainder_z
      - .offset:         104
        .size:           8
        .value_kind:     hidden_global_offset_x
      - .offset:         112
        .size:           8
        .value_kind:     hidden_global_offset_y
      - .offset:         120
        .size:           8
        .value_kind:     hidden_global_offset_z
      - .offset:         128
        .size:           2
        .value_kind:     hidden_grid_dims
    .group_segment_fixed_size: 8448
    .kernarg_segment_align: 8
    .kernarg_segment_size: 320
    .language:       OpenCL C
    .language_version:
      - 2
      - 0
    .max_flat_workgroup_size: 128
    .name:           _ZN7rocprim17ROCPRIM_304000_NS6detail35device_block_merge_mergepath_kernelINS1_37wrapped_merge_sort_block_merge_configINS0_14default_configEmN2at4cuda3cub6detail10OpaqueTypeILi8EEEEEPmSC_PSA_SD_jNS1_19radix_merge_compareILb1ELb0EmNS0_19identity_decomposerEEEEEvT0_T1_T2_T3_T4_SL_jT5_PKSL_NS1_7vsmem_tE
    .private_segment_fixed_size: 0
    .sgpr_count:     42
    .sgpr_spill_count: 0
    .symbol:         _ZN7rocprim17ROCPRIM_304000_NS6detail35device_block_merge_mergepath_kernelINS1_37wrapped_merge_sort_block_merge_configINS0_14default_configEmN2at4cuda3cub6detail10OpaqueTypeILi8EEEEEPmSC_PSA_SD_jNS1_19radix_merge_compareILb1ELb0EmNS0_19identity_decomposerEEEEEvT0_T1_T2_T3_T4_SL_jT5_PKSL_NS1_7vsmem_tE.kd
    .uniform_work_group_size: 1
    .uses_dynamic_stack: false
    .vgpr_count:     49
    .vgpr_spill_count: 0
    .wavefront_size: 64
  - .agpr_count:     0
    .args:
      - .address_space:  global
        .offset:         0
        .size:           8
        .value_kind:     global_buffer
      - .address_space:  global
        .offset:         8
        .size:           8
        .value_kind:     global_buffer
      - .address_space:  global
        .offset:         16
        .size:           8
        .value_kind:     global_buffer
      - .address_space:  global
        .offset:         24
        .size:           8
        .value_kind:     global_buffer
      - .offset:         32
        .size:           4
        .value_kind:     by_value
      - .offset:         36
        .size:           4
        .value_kind:     by_value
      - .offset:         40
        .size:           1
        .value_kind:     by_value
    .group_segment_fixed_size: 0
    .kernarg_segment_align: 8
    .kernarg_segment_size: 44
    .language:       OpenCL C
    .language_version:
      - 2
      - 0
    .max_flat_workgroup_size: 256
    .name:           _ZN7rocprim17ROCPRIM_304000_NS6detail33device_block_merge_oddeven_kernelINS1_37wrapped_merge_sort_block_merge_configINS0_14default_configEmN2at4cuda3cub6detail10OpaqueTypeILi8EEEEEPmSC_PSA_SD_jNS1_19radix_merge_compareILb1ELb0EmNS0_19identity_decomposerEEEEEvT0_T1_T2_T3_T4_SL_T5_
    .private_segment_fixed_size: 0
    .sgpr_count:     28
    .sgpr_spill_count: 0
    .symbol:         _ZN7rocprim17ROCPRIM_304000_NS6detail33device_block_merge_oddeven_kernelINS1_37wrapped_merge_sort_block_merge_configINS0_14default_configEmN2at4cuda3cub6detail10OpaqueTypeILi8EEEEEPmSC_PSA_SD_jNS1_19radix_merge_compareILb1ELb0EmNS0_19identity_decomposerEEEEEvT0_T1_T2_T3_T4_SL_T5_.kd
    .uniform_work_group_size: 1
    .uses_dynamic_stack: false
    .vgpr_count:     13
    .vgpr_spill_count: 0
    .wavefront_size: 64
  - .agpr_count:     0
    .args:
      - .address_space:  global
        .offset:         0
        .size:           8
        .value_kind:     global_buffer
      - .offset:         8
        .size:           8
        .value_kind:     by_value
      - .address_space:  global
        .offset:         16
        .size:           8
        .value_kind:     global_buffer
      - .offset:         24
        .size:           1
        .value_kind:     by_value
      - .offset:         32
        .size:           4
        .value_kind:     hidden_block_count_x
      - .offset:         36
        .size:           4
        .value_kind:     hidden_block_count_y
      - .offset:         40
        .size:           4
        .value_kind:     hidden_block_count_z
      - .offset:         44
        .size:           2
        .value_kind:     hidden_group_size_x
      - .offset:         46
        .size:           2
        .value_kind:     hidden_group_size_y
      - .offset:         48
        .size:           2
        .value_kind:     hidden_group_size_z
      - .offset:         50
        .size:           2
        .value_kind:     hidden_remainder_x
      - .offset:         52
        .size:           2
        .value_kind:     hidden_remainder_y
      - .offset:         54
        .size:           2
        .value_kind:     hidden_remainder_z
      - .offset:         72
        .size:           8
        .value_kind:     hidden_global_offset_x
      - .offset:         80
        .size:           8
        .value_kind:     hidden_global_offset_y
      - .offset:         88
        .size:           8
        .value_kind:     hidden_global_offset_z
      - .offset:         96
        .size:           2
        .value_kind:     hidden_grid_dims
    .group_segment_fixed_size: 0
    .kernarg_segment_align: 8
    .kernarg_segment_size: 288
    .language:       OpenCL C
    .language_version:
      - 2
      - 0
    .max_flat_workgroup_size: 128
    .name:           _ZN7rocprim17ROCPRIM_304000_NS6detail16transform_kernelINS1_24wrapped_transform_configINS0_14default_configEmEEmPmS6_NS0_8identityImEEEEvT1_mT2_T3_
    .private_segment_fixed_size: 0
    .sgpr_count:     16
    .sgpr_spill_count: 0
    .symbol:         _ZN7rocprim17ROCPRIM_304000_NS6detail16transform_kernelINS1_24wrapped_transform_configINS0_14default_configEmEEmPmS6_NS0_8identityImEEEEvT1_mT2_T3_.kd
    .uniform_work_group_size: 1
    .uses_dynamic_stack: false
    .vgpr_count:     3
    .vgpr_spill_count: 0
    .wavefront_size: 64
  - .agpr_count:     0
    .args:
      - .address_space:  global
        .offset:         0
        .size:           8
        .value_kind:     global_buffer
      - .offset:         8
        .size:           8
        .value_kind:     by_value
      - .address_space:  global
        .offset:         16
        .size:           8
        .value_kind:     global_buffer
      - .offset:         24
        .size:           1
        .value_kind:     by_value
      - .offset:         32
        .size:           4
        .value_kind:     hidden_block_count_x
      - .offset:         36
        .size:           4
        .value_kind:     hidden_block_count_y
      - .offset:         40
        .size:           4
        .value_kind:     hidden_block_count_z
      - .offset:         44
        .size:           2
        .value_kind:     hidden_group_size_x
      - .offset:         46
        .size:           2
        .value_kind:     hidden_group_size_y
      - .offset:         48
        .size:           2
        .value_kind:     hidden_group_size_z
      - .offset:         50
        .size:           2
        .value_kind:     hidden_remainder_x
      - .offset:         52
        .size:           2
        .value_kind:     hidden_remainder_y
      - .offset:         54
        .size:           2
        .value_kind:     hidden_remainder_z
      - .offset:         72
        .size:           8
        .value_kind:     hidden_global_offset_x
      - .offset:         80
        .size:           8
        .value_kind:     hidden_global_offset_y
      - .offset:         88
        .size:           8
        .value_kind:     hidden_global_offset_z
      - .offset:         96
        .size:           2
        .value_kind:     hidden_grid_dims
    .group_segment_fixed_size: 0
    .kernarg_segment_align: 8
    .kernarg_segment_size: 288
    .language:       OpenCL C
    .language_version:
      - 2
      - 0
    .max_flat_workgroup_size: 128
    .name:           _ZN7rocprim17ROCPRIM_304000_NS6detail16transform_kernelINS1_24wrapped_transform_configINS0_14default_configEN2at4cuda3cub6detail10OpaqueTypeILi8EEEEESA_PSA_SC_NS0_8identityISA_EEEEvT1_mT2_T3_
    .private_segment_fixed_size: 0
    .sgpr_count:     16
    .sgpr_spill_count: 0
    .symbol:         _ZN7rocprim17ROCPRIM_304000_NS6detail16transform_kernelINS1_24wrapped_transform_configINS0_14default_configEN2at4cuda3cub6detail10OpaqueTypeILi8EEEEESA_PSA_SC_NS0_8identityISA_EEEEvT1_mT2_T3_.kd
    .uniform_work_group_size: 1
    .uses_dynamic_stack: false
    .vgpr_count:     3
    .vgpr_spill_count: 0
    .wavefront_size: 64
  - .agpr_count:     0
    .args:
      - .address_space:  global
        .offset:         0
        .size:           8
        .value_kind:     global_buffer
      - .offset:         8
        .size:           4
        .value_kind:     by_value
      - .offset:         12
        .size:           4
        .value_kind:     by_value
      - .address_space:  global
        .offset:         16
        .size:           8
        .value_kind:     global_buffer
      - .offset:         24
        .size:           8
        .value_kind:     by_value
      - .offset:         32
        .size:           4
        .value_kind:     by_value
    .group_segment_fixed_size: 0
    .kernarg_segment_align: 8
    .kernarg_segment_size: 36
    .language:       OpenCL C
    .language_version:
      - 2
      - 0
    .max_flat_workgroup_size: 128
    .name:           _ZN7rocprim17ROCPRIM_304000_NS6detail45device_block_merge_mergepath_partition_kernelINS1_37wrapped_merge_sort_block_merge_configINS0_14default_configEmN2at4cuda3cub6detail10OpaqueTypeILi8EEEEEPmjNS1_19radix_merge_compareILb1ELb1EmNS0_19identity_decomposerEEEEEvT0_T1_jPSH_T2_SH_
    .private_segment_fixed_size: 0
    .sgpr_count:     16
    .sgpr_spill_count: 0
    .symbol:         _ZN7rocprim17ROCPRIM_304000_NS6detail45device_block_merge_mergepath_partition_kernelINS1_37wrapped_merge_sort_block_merge_configINS0_14default_configEmN2at4cuda3cub6detail10OpaqueTypeILi8EEEEEPmjNS1_19radix_merge_compareILb1ELb1EmNS0_19identity_decomposerEEEEEvT0_T1_jPSH_T2_SH_.kd
    .uniform_work_group_size: 1
    .uses_dynamic_stack: false
    .vgpr_count:     16
    .vgpr_spill_count: 0
    .wavefront_size: 64
  - .agpr_count:     0
    .args:
      - .address_space:  global
        .offset:         0
        .size:           8
        .value_kind:     global_buffer
      - .address_space:  global
        .offset:         8
        .size:           8
        .value_kind:     global_buffer
      - .address_space:  global
        .offset:         16
        .size:           8
        .value_kind:     global_buffer
      - .address_space:  global
        .offset:         24
        .size:           8
        .value_kind:     global_buffer
      - .offset:         32
        .size:           4
        .value_kind:     by_value
      - .offset:         36
        .size:           4
        .value_kind:     by_value
      - .offset:         40
        .size:           4
        .value_kind:     by_value
      - .offset:         48
        .size:           8
        .value_kind:     by_value
      - .address_space:  global
        .offset:         56
        .size:           8
        .value_kind:     global_buffer
      - .address_space:  global
        .offset:         64
        .size:           8
        .value_kind:     global_buffer
      - .offset:         72
        .size:           4
        .value_kind:     hidden_block_count_x
      - .offset:         76
        .size:           4
        .value_kind:     hidden_block_count_y
      - .offset:         80
        .size:           4
        .value_kind:     hidden_block_count_z
      - .offset:         84
        .size:           2
        .value_kind:     hidden_group_size_x
      - .offset:         86
        .size:           2
        .value_kind:     hidden_group_size_y
      - .offset:         88
        .size:           2
        .value_kind:     hidden_group_size_z
      - .offset:         90
        .size:           2
        .value_kind:     hidden_remainder_x
      - .offset:         92
        .size:           2
        .value_kind:     hidden_remainder_y
      - .offset:         94
        .size:           2
        .value_kind:     hidden_remainder_z
      - .offset:         112
        .size:           8
        .value_kind:     hidden_global_offset_x
      - .offset:         120
        .size:           8
        .value_kind:     hidden_global_offset_y
      - .offset:         128
        .size:           8
        .value_kind:     hidden_global_offset_z
      - .offset:         136
        .size:           2
        .value_kind:     hidden_grid_dims
    .group_segment_fixed_size: 8448
    .kernarg_segment_align: 8
    .kernarg_segment_size: 328
    .language:       OpenCL C
    .language_version:
      - 2
      - 0
    .max_flat_workgroup_size: 128
    .name:           _ZN7rocprim17ROCPRIM_304000_NS6detail35device_block_merge_mergepath_kernelINS1_37wrapped_merge_sort_block_merge_configINS0_14default_configEmN2at4cuda3cub6detail10OpaqueTypeILi8EEEEEPmSC_PSA_SD_jNS1_19radix_merge_compareILb1ELb1EmNS0_19identity_decomposerEEEEEvT0_T1_T2_T3_T4_SL_jT5_PKSL_NS1_7vsmem_tE
    .private_segment_fixed_size: 0
    .sgpr_count:     44
    .sgpr_spill_count: 0
    .symbol:         _ZN7rocprim17ROCPRIM_304000_NS6detail35device_block_merge_mergepath_kernelINS1_37wrapped_merge_sort_block_merge_configINS0_14default_configEmN2at4cuda3cub6detail10OpaqueTypeILi8EEEEEPmSC_PSA_SD_jNS1_19radix_merge_compareILb1ELb1EmNS0_19identity_decomposerEEEEEvT0_T1_T2_T3_T4_SL_jT5_PKSL_NS1_7vsmem_tE.kd
    .uniform_work_group_size: 1
    .uses_dynamic_stack: false
    .vgpr_count:     49
    .vgpr_spill_count: 0
    .wavefront_size: 64
  - .agpr_count:     0
    .args:
      - .address_space:  global
        .offset:         0
        .size:           8
        .value_kind:     global_buffer
      - .address_space:  global
        .offset:         8
        .size:           8
        .value_kind:     global_buffer
      - .address_space:  global
        .offset:         16
        .size:           8
        .value_kind:     global_buffer
      - .address_space:  global
        .offset:         24
        .size:           8
        .value_kind:     global_buffer
      - .offset:         32
        .size:           4
        .value_kind:     by_value
      - .offset:         36
        .size:           4
        .value_kind:     by_value
      - .offset:         40
        .size:           8
        .value_kind:     by_value
    .group_segment_fixed_size: 0
    .kernarg_segment_align: 8
    .kernarg_segment_size: 48
    .language:       OpenCL C
    .language_version:
      - 2
      - 0
    .max_flat_workgroup_size: 256
    .name:           _ZN7rocprim17ROCPRIM_304000_NS6detail33device_block_merge_oddeven_kernelINS1_37wrapped_merge_sort_block_merge_configINS0_14default_configEmN2at4cuda3cub6detail10OpaqueTypeILi8EEEEEPmSC_PSA_SD_jNS1_19radix_merge_compareILb1ELb1EmNS0_19identity_decomposerEEEEEvT0_T1_T2_T3_T4_SL_T5_
    .private_segment_fixed_size: 0
    .sgpr_count:     30
    .sgpr_spill_count: 0
    .symbol:         _ZN7rocprim17ROCPRIM_304000_NS6detail33device_block_merge_oddeven_kernelINS1_37wrapped_merge_sort_block_merge_configINS0_14default_configEmN2at4cuda3cub6detail10OpaqueTypeILi8EEEEEPmSC_PSA_SD_jNS1_19radix_merge_compareILb1ELb1EmNS0_19identity_decomposerEEEEEvT0_T1_T2_T3_T4_SL_T5_.kd
    .uniform_work_group_size: 1
    .uses_dynamic_stack: false
    .vgpr_count:     15
    .vgpr_spill_count: 0
    .wavefront_size: 64
  - .agpr_count:     0
    .args:
      - .address_space:  global
        .offset:         0
        .size:           8
        .value_kind:     global_buffer
      - .address_space:  global
        .offset:         8
        .size:           8
        .value_kind:     global_buffer
      - .offset:         16
        .size:           8
        .value_kind:     by_value
      - .offset:         24
        .size:           8
        .value_kind:     by_value
      - .offset:         32
        .size:           1
        .value_kind:     by_value
      - .offset:         36
        .size:           4
        .value_kind:     by_value
      - .offset:         40
        .size:           4
        .value_kind:     by_value
    .group_segment_fixed_size: 11264
    .kernarg_segment_align: 8
    .kernarg_segment_size: 44
    .language:       OpenCL C
    .language_version:
      - 2
      - 0
    .max_flat_workgroup_size: 1024
    .name:           _ZN7rocprim17ROCPRIM_304000_NS6detail26onesweep_histograms_kernelINS1_34wrapped_radix_sort_onesweep_configINS0_14default_configEmN2at4cuda3cub6detail10OpaqueTypeILi8EEEEELb1EPKmmNS0_19identity_decomposerEEEvT1_PT2_SG_SG_T3_jj
    .private_segment_fixed_size: 0
    .sgpr_count:     34
    .sgpr_spill_count: 0
    .symbol:         _ZN7rocprim17ROCPRIM_304000_NS6detail26onesweep_histograms_kernelINS1_34wrapped_radix_sort_onesweep_configINS0_14default_configEmN2at4cuda3cub6detail10OpaqueTypeILi8EEEEELb1EPKmmNS0_19identity_decomposerEEEvT1_PT2_SG_SG_T3_jj.kd
    .uniform_work_group_size: 1
    .uses_dynamic_stack: false
    .vgpr_count:     26
    .vgpr_spill_count: 0
    .wavefront_size: 64
  - .agpr_count:     0
    .args:
      - .address_space:  global
        .offset:         0
        .size:           8
        .value_kind:     global_buffer
    .group_segment_fixed_size: 128
    .kernarg_segment_align: 8
    .kernarg_segment_size: 8
    .language:       OpenCL C
    .language_version:
      - 2
      - 0
    .max_flat_workgroup_size: 1024
    .name:           _ZN7rocprim17ROCPRIM_304000_NS6detail31onesweep_scan_histograms_kernelINS1_34wrapped_radix_sort_onesweep_configINS0_14default_configEmN2at4cuda3cub6detail10OpaqueTypeILi8EEEEEmEEvPT0_
    .private_segment_fixed_size: 0
    .sgpr_count:     26
    .sgpr_spill_count: 0
    .symbol:         _ZN7rocprim17ROCPRIM_304000_NS6detail31onesweep_scan_histograms_kernelINS1_34wrapped_radix_sort_onesweep_configINS0_14default_configEmN2at4cuda3cub6detail10OpaqueTypeILi8EEEEEmEEvPT0_.kd
    .uniform_work_group_size: 1
    .uses_dynamic_stack: false
    .vgpr_count:     14
    .vgpr_spill_count: 0
    .wavefront_size: 64
  - .agpr_count:     0
    .args:
      - .address_space:  global
        .offset:         0
        .size:           8
        .value_kind:     global_buffer
      - .offset:         8
        .size:           8
        .value_kind:     by_value
      - .address_space:  global
        .offset:         16
        .size:           8
        .value_kind:     global_buffer
      - .offset:         24
        .size:           1
        .value_kind:     by_value
      - .offset:         32
        .size:           4
        .value_kind:     hidden_block_count_x
      - .offset:         36
        .size:           4
        .value_kind:     hidden_block_count_y
      - .offset:         40
        .size:           4
        .value_kind:     hidden_block_count_z
      - .offset:         44
        .size:           2
        .value_kind:     hidden_group_size_x
      - .offset:         46
        .size:           2
        .value_kind:     hidden_group_size_y
      - .offset:         48
        .size:           2
        .value_kind:     hidden_group_size_z
      - .offset:         50
        .size:           2
        .value_kind:     hidden_remainder_x
      - .offset:         52
        .size:           2
        .value_kind:     hidden_remainder_y
      - .offset:         54
        .size:           2
        .value_kind:     hidden_remainder_z
      - .offset:         72
        .size:           8
        .value_kind:     hidden_global_offset_x
      - .offset:         80
        .size:           8
        .value_kind:     hidden_global_offset_y
      - .offset:         88
        .size:           8
        .value_kind:     hidden_global_offset_z
      - .offset:         96
        .size:           2
        .value_kind:     hidden_grid_dims
    .group_segment_fixed_size: 0
    .kernarg_segment_align: 8
    .kernarg_segment_size: 288
    .language:       OpenCL C
    .language_version:
      - 2
      - 0
    .max_flat_workgroup_size: 128
    .name:           _ZN7rocprim17ROCPRIM_304000_NS6detail16transform_kernelINS1_24wrapped_transform_configINS0_14default_configEmEEmPKmPmNS0_8identityImEEEEvT1_mT2_T3_
    .private_segment_fixed_size: 0
    .sgpr_count:     16
    .sgpr_spill_count: 0
    .symbol:         _ZN7rocprim17ROCPRIM_304000_NS6detail16transform_kernelINS1_24wrapped_transform_configINS0_14default_configEmEEmPKmPmNS0_8identityImEEEEvT1_mT2_T3_.kd
    .uniform_work_group_size: 1
    .uses_dynamic_stack: false
    .vgpr_count:     3
    .vgpr_spill_count: 0
    .wavefront_size: 64
  - .agpr_count:     0
    .args:
      - .address_space:  global
        .offset:         0
        .size:           8
        .value_kind:     global_buffer
      - .offset:         8
        .size:           8
        .value_kind:     by_value
      - .address_space:  global
        .offset:         16
        .size:           8
        .value_kind:     global_buffer
      - .offset:         24
        .size:           1
        .value_kind:     by_value
      - .offset:         32
        .size:           4
        .value_kind:     hidden_block_count_x
      - .offset:         36
        .size:           4
        .value_kind:     hidden_block_count_y
      - .offset:         40
        .size:           4
        .value_kind:     hidden_block_count_z
      - .offset:         44
        .size:           2
        .value_kind:     hidden_group_size_x
      - .offset:         46
        .size:           2
        .value_kind:     hidden_group_size_y
      - .offset:         48
        .size:           2
        .value_kind:     hidden_group_size_z
      - .offset:         50
        .size:           2
        .value_kind:     hidden_remainder_x
      - .offset:         52
        .size:           2
        .value_kind:     hidden_remainder_y
      - .offset:         54
        .size:           2
        .value_kind:     hidden_remainder_z
      - .offset:         72
        .size:           8
        .value_kind:     hidden_global_offset_x
      - .offset:         80
        .size:           8
        .value_kind:     hidden_global_offset_y
      - .offset:         88
        .size:           8
        .value_kind:     hidden_global_offset_z
      - .offset:         96
        .size:           2
        .value_kind:     hidden_grid_dims
    .group_segment_fixed_size: 0
    .kernarg_segment_align: 8
    .kernarg_segment_size: 288
    .language:       OpenCL C
    .language_version:
      - 2
      - 0
    .max_flat_workgroup_size: 128
    .name:           _ZN7rocprim17ROCPRIM_304000_NS6detail16transform_kernelINS1_24wrapped_transform_configINS0_14default_configEN2at4cuda3cub6detail10OpaqueTypeILi8EEEEESA_PKSA_PSA_NS0_8identityISA_EEEEvT1_mT2_T3_
    .private_segment_fixed_size: 0
    .sgpr_count:     16
    .sgpr_spill_count: 0
    .symbol:         _ZN7rocprim17ROCPRIM_304000_NS6detail16transform_kernelINS1_24wrapped_transform_configINS0_14default_configEN2at4cuda3cub6detail10OpaqueTypeILi8EEEEESA_PKSA_PSA_NS0_8identityISA_EEEEvT1_mT2_T3_.kd
    .uniform_work_group_size: 1
    .uses_dynamic_stack: false
    .vgpr_count:     3
    .vgpr_spill_count: 0
    .wavefront_size: 64
  - .agpr_count:     0
    .args:
      - .address_space:  global
        .offset:         0
        .size:           8
        .value_kind:     global_buffer
      - .address_space:  global
        .offset:         8
        .size:           8
        .value_kind:     global_buffer
      - .address_space:  global
        .offset:         16
        .size:           8
        .value_kind:     global_buffer
      - .address_space:  global
        .offset:         24
        .size:           8
        .value_kind:     global_buffer
      - .offset:         32
        .size:           4
        .value_kind:     by_value
      - .address_space:  global
        .offset:         40
        .size:           8
        .value_kind:     global_buffer
      - .address_space:  global
        .offset:         48
        .size:           8
        .value_kind:     global_buffer
      - .address_space:  global
        .offset:         56
        .size:           8
        .value_kind:     global_buffer
      - .offset:         64
        .size:           1
        .value_kind:     by_value
      - .offset:         68
        .size:           4
        .value_kind:     by_value
      - .offset:         72
        .size:           4
        .value_kind:     by_value
      - .offset:         76
        .size:           4
        .value_kind:     by_value
      - .offset:         80
        .size:           4
        .value_kind:     hidden_block_count_x
      - .offset:         84
        .size:           4
        .value_kind:     hidden_block_count_y
      - .offset:         88
        .size:           4
        .value_kind:     hidden_block_count_z
      - .offset:         92
        .size:           2
        .value_kind:     hidden_group_size_x
      - .offset:         94
        .size:           2
        .value_kind:     hidden_group_size_y
      - .offset:         96
        .size:           2
        .value_kind:     hidden_group_size_z
      - .offset:         98
        .size:           2
        .value_kind:     hidden_remainder_x
      - .offset:         100
        .size:           2
        .value_kind:     hidden_remainder_y
      - .offset:         102
        .size:           2
        .value_kind:     hidden_remainder_z
      - .offset:         120
        .size:           8
        .value_kind:     hidden_global_offset_x
      - .offset:         128
        .size:           8
        .value_kind:     hidden_global_offset_y
      - .offset:         136
        .size:           8
        .value_kind:     hidden_global_offset_z
      - .offset:         144
        .size:           2
        .value_kind:     hidden_grid_dims
    .group_segment_fixed_size: 49664
    .kernarg_segment_align: 8
    .kernarg_segment_size: 336
    .language:       OpenCL C
    .language_version:
      - 2
      - 0
    .max_flat_workgroup_size: 1024
    .name:           _ZN7rocprim17ROCPRIM_304000_NS6detail25onesweep_iteration_kernelINS1_34wrapped_radix_sort_onesweep_configINS0_14default_configEmN2at4cuda3cub6detail10OpaqueTypeILi8EEEEELb1EPKmPmPKSA_PSA_mNS0_19identity_decomposerEEEvT1_T2_T3_T4_jPT5_SO_PNS1_23onesweep_lookback_stateET6_jjj
    .private_segment_fixed_size: 0
    .sgpr_count:     58
    .sgpr_spill_count: 0
    .symbol:         _ZN7rocprim17ROCPRIM_304000_NS6detail25onesweep_iteration_kernelINS1_34wrapped_radix_sort_onesweep_configINS0_14default_configEmN2at4cuda3cub6detail10OpaqueTypeILi8EEEEELb1EPKmPmPKSA_PSA_mNS0_19identity_decomposerEEEvT1_T2_T3_T4_jPT5_SO_PNS1_23onesweep_lookback_stateET6_jjj.kd
    .uniform_work_group_size: 1
    .uses_dynamic_stack: false
    .vgpr_count:     42
    .vgpr_spill_count: 0
    .wavefront_size: 64
  - .agpr_count:     0
    .args:
      - .address_space:  global
        .offset:         0
        .size:           8
        .value_kind:     global_buffer
      - .address_space:  global
        .offset:         8
        .size:           8
        .value_kind:     global_buffer
      - .address_space:  global
        .offset:         16
        .size:           8
        .value_kind:     global_buffer
      - .address_space:  global
        .offset:         24
        .size:           8
        .value_kind:     global_buffer
      - .offset:         32
        .size:           4
        .value_kind:     by_value
      - .address_space:  global
        .offset:         40
        .size:           8
        .value_kind:     global_buffer
      - .address_space:  global
        .offset:         48
        .size:           8
        .value_kind:     global_buffer
      - .address_space:  global
        .offset:         56
        .size:           8
        .value_kind:     global_buffer
      - .offset:         64
        .size:           1
        .value_kind:     by_value
      - .offset:         68
        .size:           4
        .value_kind:     by_value
      - .offset:         72
        .size:           4
        .value_kind:     by_value
      - .offset:         76
        .size:           4
        .value_kind:     by_value
      - .offset:         80
        .size:           4
        .value_kind:     hidden_block_count_x
      - .offset:         84
        .size:           4
        .value_kind:     hidden_block_count_y
      - .offset:         88
        .size:           4
        .value_kind:     hidden_block_count_z
      - .offset:         92
        .size:           2
        .value_kind:     hidden_group_size_x
      - .offset:         94
        .size:           2
        .value_kind:     hidden_group_size_y
      - .offset:         96
        .size:           2
        .value_kind:     hidden_group_size_z
      - .offset:         98
        .size:           2
        .value_kind:     hidden_remainder_x
      - .offset:         100
        .size:           2
        .value_kind:     hidden_remainder_y
      - .offset:         102
        .size:           2
        .value_kind:     hidden_remainder_z
      - .offset:         120
        .size:           8
        .value_kind:     hidden_global_offset_x
      - .offset:         128
        .size:           8
        .value_kind:     hidden_global_offset_y
      - .offset:         136
        .size:           8
        .value_kind:     hidden_global_offset_z
      - .offset:         144
        .size:           2
        .value_kind:     hidden_grid_dims
    .group_segment_fixed_size: 49664
    .kernarg_segment_align: 8
    .kernarg_segment_size: 336
    .language:       OpenCL C
    .language_version:
      - 2
      - 0
    .max_flat_workgroup_size: 1024
    .name:           _ZN7rocprim17ROCPRIM_304000_NS6detail25onesweep_iteration_kernelINS1_34wrapped_radix_sort_onesweep_configINS0_14default_configEmN2at4cuda3cub6detail10OpaqueTypeILi8EEEEELb1EPmSC_PSA_SD_mNS0_19identity_decomposerEEEvT1_T2_T3_T4_jPT5_SK_PNS1_23onesweep_lookback_stateET6_jjj
    .private_segment_fixed_size: 0
    .sgpr_count:     58
    .sgpr_spill_count: 0
    .symbol:         _ZN7rocprim17ROCPRIM_304000_NS6detail25onesweep_iteration_kernelINS1_34wrapped_radix_sort_onesweep_configINS0_14default_configEmN2at4cuda3cub6detail10OpaqueTypeILi8EEEEELb1EPmSC_PSA_SD_mNS0_19identity_decomposerEEEvT1_T2_T3_T4_jPT5_SK_PNS1_23onesweep_lookback_stateET6_jjj.kd
    .uniform_work_group_size: 1
    .uses_dynamic_stack: false
    .vgpr_count:     42
    .vgpr_spill_count: 0
    .wavefront_size: 64
  - .agpr_count:     0
    .args:
      - .address_space:  global
        .offset:         0
        .size:           8
        .value_kind:     global_buffer
      - .address_space:  global
        .offset:         8
        .size:           8
        .value_kind:     global_buffer
      - .address_space:  global
        .offset:         16
        .size:           8
        .value_kind:     global_buffer
      - .address_space:  global
        .offset:         24
        .size:           8
        .value_kind:     global_buffer
      - .offset:         32
        .size:           4
        .value_kind:     by_value
      - .offset:         36
        .size:           1
        .value_kind:     by_value
      - .offset:         40
        .size:           4
        .value_kind:     by_value
      - .offset:         44
        .size:           4
        .value_kind:     by_value
      - .offset:         48
        .size:           4
        .value_kind:     hidden_block_count_x
      - .offset:         52
        .size:           4
        .value_kind:     hidden_block_count_y
      - .offset:         56
        .size:           4
        .value_kind:     hidden_block_count_z
      - .offset:         60
        .size:           2
        .value_kind:     hidden_group_size_x
      - .offset:         62
        .size:           2
        .value_kind:     hidden_group_size_y
      - .offset:         64
        .size:           2
        .value_kind:     hidden_group_size_z
      - .offset:         66
        .size:           2
        .value_kind:     hidden_remainder_x
      - .offset:         68
        .size:           2
        .value_kind:     hidden_remainder_y
      - .offset:         70
        .size:           2
        .value_kind:     hidden_remainder_z
      - .offset:         88
        .size:           8
        .value_kind:     hidden_global_offset_x
      - .offset:         96
        .size:           8
        .value_kind:     hidden_global_offset_y
      - .offset:         104
        .size:           8
        .value_kind:     hidden_global_offset_z
      - .offset:         112
        .size:           2
        .value_kind:     hidden_grid_dims
    .group_segment_fixed_size: 8192
    .kernarg_segment_align: 8
    .kernarg_segment_size: 304
    .language:       OpenCL C
    .language_version:
      - 2
      - 0
    .max_flat_workgroup_size: 256
    .name:           _ZN7rocprim17ROCPRIM_304000_NS6detail28radix_sort_block_sort_kernelINS1_36wrapped_radix_sort_block_sort_configINS0_13kernel_configILj256ELj4ELj4294967295EEEmN2at4cuda3cub6detail10OpaqueTypeILi8EEEEELb0EPKmPmPKSB_PSB_NS0_19identity_decomposerEEEvT1_T2_T3_T4_jT5_jj
    .private_segment_fixed_size: 0
    .sgpr_count:     50
    .sgpr_spill_count: 0
    .symbol:         _ZN7rocprim17ROCPRIM_304000_NS6detail28radix_sort_block_sort_kernelINS1_36wrapped_radix_sort_block_sort_configINS0_13kernel_configILj256ELj4ELj4294967295EEEmN2at4cuda3cub6detail10OpaqueTypeILi8EEEEELb0EPKmPmPKSB_PSB_NS0_19identity_decomposerEEEvT1_T2_T3_T4_jT5_jj.kd
    .uniform_work_group_size: 1
    .uses_dynamic_stack: false
    .vgpr_count:     52
    .vgpr_spill_count: 0
    .wavefront_size: 64
  - .agpr_count:     0
    .args:
      - .address_space:  global
        .offset:         0
        .size:           8
        .value_kind:     global_buffer
      - .offset:         8
        .size:           4
        .value_kind:     by_value
      - .offset:         12
        .size:           4
        .value_kind:     by_value
      - .address_space:  global
        .offset:         16
        .size:           8
        .value_kind:     global_buffer
      - .offset:         24
        .size:           1
        .value_kind:     by_value
      - .offset:         28
        .size:           4
        .value_kind:     by_value
    .group_segment_fixed_size: 0
    .kernarg_segment_align: 8
    .kernarg_segment_size: 32
    .language:       OpenCL C
    .language_version:
      - 2
      - 0
    .max_flat_workgroup_size: 128
    .name:           _ZN7rocprim17ROCPRIM_304000_NS6detail45device_block_merge_mergepath_partition_kernelINS1_37wrapped_merge_sort_block_merge_configINS0_14default_configEmN2at4cuda3cub6detail10OpaqueTypeILi8EEEEEPmjNS1_19radix_merge_compareILb0ELb0EmNS0_19identity_decomposerEEEEEvT0_T1_jPSH_T2_SH_
    .private_segment_fixed_size: 0
    .sgpr_count:     12
    .sgpr_spill_count: 0
    .symbol:         _ZN7rocprim17ROCPRIM_304000_NS6detail45device_block_merge_mergepath_partition_kernelINS1_37wrapped_merge_sort_block_merge_configINS0_14default_configEmN2at4cuda3cub6detail10OpaqueTypeILi8EEEEEPmjNS1_19radix_merge_compareILb0ELb0EmNS0_19identity_decomposerEEEEEvT0_T1_jPSH_T2_SH_.kd
    .uniform_work_group_size: 1
    .uses_dynamic_stack: false
    .vgpr_count:     20
    .vgpr_spill_count: 0
    .wavefront_size: 64
  - .agpr_count:     0
    .args:
      - .address_space:  global
        .offset:         0
        .size:           8
        .value_kind:     global_buffer
      - .address_space:  global
        .offset:         8
        .size:           8
        .value_kind:     global_buffer
      - .address_space:  global
        .offset:         16
        .size:           8
        .value_kind:     global_buffer
      - .address_space:  global
        .offset:         24
        .size:           8
        .value_kind:     global_buffer
      - .offset:         32
        .size:           4
        .value_kind:     by_value
      - .offset:         36
        .size:           4
        .value_kind:     by_value
      - .offset:         40
        .size:           4
        .value_kind:     by_value
      - .offset:         44
        .size:           1
        .value_kind:     by_value
      - .address_space:  global
        .offset:         48
        .size:           8
        .value_kind:     global_buffer
      - .address_space:  global
        .offset:         56
        .size:           8
        .value_kind:     global_buffer
      - .offset:         64
        .size:           4
        .value_kind:     hidden_block_count_x
      - .offset:         68
        .size:           4
        .value_kind:     hidden_block_count_y
      - .offset:         72
        .size:           4
        .value_kind:     hidden_block_count_z
      - .offset:         76
        .size:           2
        .value_kind:     hidden_group_size_x
      - .offset:         78
        .size:           2
        .value_kind:     hidden_group_size_y
      - .offset:         80
        .size:           2
        .value_kind:     hidden_group_size_z
      - .offset:         82
        .size:           2
        .value_kind:     hidden_remainder_x
      - .offset:         84
        .size:           2
        .value_kind:     hidden_remainder_y
      - .offset:         86
        .size:           2
        .value_kind:     hidden_remainder_z
      - .offset:         104
        .size:           8
        .value_kind:     hidden_global_offset_x
      - .offset:         112
        .size:           8
        .value_kind:     hidden_global_offset_y
      - .offset:         120
        .size:           8
        .value_kind:     hidden_global_offset_z
      - .offset:         128
        .size:           2
        .value_kind:     hidden_grid_dims
    .group_segment_fixed_size: 8448
    .kernarg_segment_align: 8
    .kernarg_segment_size: 320
    .language:       OpenCL C
    .language_version:
      - 2
      - 0
    .max_flat_workgroup_size: 128
    .name:           _ZN7rocprim17ROCPRIM_304000_NS6detail35device_block_merge_mergepath_kernelINS1_37wrapped_merge_sort_block_merge_configINS0_14default_configEmN2at4cuda3cub6detail10OpaqueTypeILi8EEEEEPmSC_PSA_SD_jNS1_19radix_merge_compareILb0ELb0EmNS0_19identity_decomposerEEEEEvT0_T1_T2_T3_T4_SL_jT5_PKSL_NS1_7vsmem_tE
    .private_segment_fixed_size: 0
    .sgpr_count:     42
    .sgpr_spill_count: 0
    .symbol:         _ZN7rocprim17ROCPRIM_304000_NS6detail35device_block_merge_mergepath_kernelINS1_37wrapped_merge_sort_block_merge_configINS0_14default_configEmN2at4cuda3cub6detail10OpaqueTypeILi8EEEEEPmSC_PSA_SD_jNS1_19radix_merge_compareILb0ELb0EmNS0_19identity_decomposerEEEEEvT0_T1_T2_T3_T4_SL_jT5_PKSL_NS1_7vsmem_tE.kd
    .uniform_work_group_size: 1
    .uses_dynamic_stack: false
    .vgpr_count:     49
    .vgpr_spill_count: 0
    .wavefront_size: 64
  - .agpr_count:     0
    .args:
      - .address_space:  global
        .offset:         0
        .size:           8
        .value_kind:     global_buffer
      - .address_space:  global
        .offset:         8
        .size:           8
        .value_kind:     global_buffer
      - .address_space:  global
        .offset:         16
        .size:           8
        .value_kind:     global_buffer
      - .address_space:  global
        .offset:         24
        .size:           8
        .value_kind:     global_buffer
      - .offset:         32
        .size:           4
        .value_kind:     by_value
      - .offset:         36
        .size:           4
        .value_kind:     by_value
      - .offset:         40
        .size:           1
        .value_kind:     by_value
    .group_segment_fixed_size: 0
    .kernarg_segment_align: 8
    .kernarg_segment_size: 44
    .language:       OpenCL C
    .language_version:
      - 2
      - 0
    .max_flat_workgroup_size: 256
    .name:           _ZN7rocprim17ROCPRIM_304000_NS6detail33device_block_merge_oddeven_kernelINS1_37wrapped_merge_sort_block_merge_configINS0_14default_configEmN2at4cuda3cub6detail10OpaqueTypeILi8EEEEEPmSC_PSA_SD_jNS1_19radix_merge_compareILb0ELb0EmNS0_19identity_decomposerEEEEEvT0_T1_T2_T3_T4_SL_T5_
    .private_segment_fixed_size: 0
    .sgpr_count:     28
    .sgpr_spill_count: 0
    .symbol:         _ZN7rocprim17ROCPRIM_304000_NS6detail33device_block_merge_oddeven_kernelINS1_37wrapped_merge_sort_block_merge_configINS0_14default_configEmN2at4cuda3cub6detail10OpaqueTypeILi8EEEEEPmSC_PSA_SD_jNS1_19radix_merge_compareILb0ELb0EmNS0_19identity_decomposerEEEEEvT0_T1_T2_T3_T4_SL_T5_.kd
    .uniform_work_group_size: 1
    .uses_dynamic_stack: false
    .vgpr_count:     13
    .vgpr_spill_count: 0
    .wavefront_size: 64
  - .agpr_count:     0
    .args:
      - .address_space:  global
        .offset:         0
        .size:           8
        .value_kind:     global_buffer
      - .offset:         8
        .size:           4
        .value_kind:     by_value
      - .offset:         12
        .size:           4
        .value_kind:     by_value
      - .address_space:  global
        .offset:         16
        .size:           8
        .value_kind:     global_buffer
      - .offset:         24
        .size:           8
        .value_kind:     by_value
      - .offset:         32
        .size:           4
        .value_kind:     by_value
    .group_segment_fixed_size: 0
    .kernarg_segment_align: 8
    .kernarg_segment_size: 36
    .language:       OpenCL C
    .language_version:
      - 2
      - 0
    .max_flat_workgroup_size: 128
    .name:           _ZN7rocprim17ROCPRIM_304000_NS6detail45device_block_merge_mergepath_partition_kernelINS1_37wrapped_merge_sort_block_merge_configINS0_14default_configEmN2at4cuda3cub6detail10OpaqueTypeILi8EEEEEPmjNS1_19radix_merge_compareILb0ELb1EmNS0_19identity_decomposerEEEEEvT0_T1_jPSH_T2_SH_
    .private_segment_fixed_size: 0
    .sgpr_count:     16
    .sgpr_spill_count: 0
    .symbol:         _ZN7rocprim17ROCPRIM_304000_NS6detail45device_block_merge_mergepath_partition_kernelINS1_37wrapped_merge_sort_block_merge_configINS0_14default_configEmN2at4cuda3cub6detail10OpaqueTypeILi8EEEEEPmjNS1_19radix_merge_compareILb0ELb1EmNS0_19identity_decomposerEEEEEvT0_T1_jPSH_T2_SH_.kd
    .uniform_work_group_size: 1
    .uses_dynamic_stack: false
    .vgpr_count:     16
    .vgpr_spill_count: 0
    .wavefront_size: 64
  - .agpr_count:     0
    .args:
      - .address_space:  global
        .offset:         0
        .size:           8
        .value_kind:     global_buffer
      - .address_space:  global
        .offset:         8
        .size:           8
        .value_kind:     global_buffer
      - .address_space:  global
        .offset:         16
        .size:           8
        .value_kind:     global_buffer
      - .address_space:  global
        .offset:         24
        .size:           8
        .value_kind:     global_buffer
      - .offset:         32
        .size:           4
        .value_kind:     by_value
      - .offset:         36
        .size:           4
        .value_kind:     by_value
      - .offset:         40
        .size:           4
        .value_kind:     by_value
      - .offset:         48
        .size:           8
        .value_kind:     by_value
      - .address_space:  global
        .offset:         56
        .size:           8
        .value_kind:     global_buffer
      - .address_space:  global
        .offset:         64
        .size:           8
        .value_kind:     global_buffer
      - .offset:         72
        .size:           4
        .value_kind:     hidden_block_count_x
      - .offset:         76
        .size:           4
        .value_kind:     hidden_block_count_y
      - .offset:         80
        .size:           4
        .value_kind:     hidden_block_count_z
      - .offset:         84
        .size:           2
        .value_kind:     hidden_group_size_x
      - .offset:         86
        .size:           2
        .value_kind:     hidden_group_size_y
      - .offset:         88
        .size:           2
        .value_kind:     hidden_group_size_z
      - .offset:         90
        .size:           2
        .value_kind:     hidden_remainder_x
      - .offset:         92
        .size:           2
        .value_kind:     hidden_remainder_y
      - .offset:         94
        .size:           2
        .value_kind:     hidden_remainder_z
      - .offset:         112
        .size:           8
        .value_kind:     hidden_global_offset_x
      - .offset:         120
        .size:           8
        .value_kind:     hidden_global_offset_y
      - .offset:         128
        .size:           8
        .value_kind:     hidden_global_offset_z
      - .offset:         136
        .size:           2
        .value_kind:     hidden_grid_dims
    .group_segment_fixed_size: 8448
    .kernarg_segment_align: 8
    .kernarg_segment_size: 328
    .language:       OpenCL C
    .language_version:
      - 2
      - 0
    .max_flat_workgroup_size: 128
    .name:           _ZN7rocprim17ROCPRIM_304000_NS6detail35device_block_merge_mergepath_kernelINS1_37wrapped_merge_sort_block_merge_configINS0_14default_configEmN2at4cuda3cub6detail10OpaqueTypeILi8EEEEEPmSC_PSA_SD_jNS1_19radix_merge_compareILb0ELb1EmNS0_19identity_decomposerEEEEEvT0_T1_T2_T3_T4_SL_jT5_PKSL_NS1_7vsmem_tE
    .private_segment_fixed_size: 0
    .sgpr_count:     44
    .sgpr_spill_count: 0
    .symbol:         _ZN7rocprim17ROCPRIM_304000_NS6detail35device_block_merge_mergepath_kernelINS1_37wrapped_merge_sort_block_merge_configINS0_14default_configEmN2at4cuda3cub6detail10OpaqueTypeILi8EEEEEPmSC_PSA_SD_jNS1_19radix_merge_compareILb0ELb1EmNS0_19identity_decomposerEEEEEvT0_T1_T2_T3_T4_SL_jT5_PKSL_NS1_7vsmem_tE.kd
    .uniform_work_group_size: 1
    .uses_dynamic_stack: false
    .vgpr_count:     49
    .vgpr_spill_count: 0
    .wavefront_size: 64
  - .agpr_count:     0
    .args:
      - .address_space:  global
        .offset:         0
        .size:           8
        .value_kind:     global_buffer
      - .address_space:  global
        .offset:         8
        .size:           8
        .value_kind:     global_buffer
      - .address_space:  global
        .offset:         16
        .size:           8
        .value_kind:     global_buffer
      - .address_space:  global
        .offset:         24
        .size:           8
        .value_kind:     global_buffer
      - .offset:         32
        .size:           4
        .value_kind:     by_value
      - .offset:         36
        .size:           4
        .value_kind:     by_value
      - .offset:         40
        .size:           8
        .value_kind:     by_value
    .group_segment_fixed_size: 0
    .kernarg_segment_align: 8
    .kernarg_segment_size: 48
    .language:       OpenCL C
    .language_version:
      - 2
      - 0
    .max_flat_workgroup_size: 256
    .name:           _ZN7rocprim17ROCPRIM_304000_NS6detail33device_block_merge_oddeven_kernelINS1_37wrapped_merge_sort_block_merge_configINS0_14default_configEmN2at4cuda3cub6detail10OpaqueTypeILi8EEEEEPmSC_PSA_SD_jNS1_19radix_merge_compareILb0ELb1EmNS0_19identity_decomposerEEEEEvT0_T1_T2_T3_T4_SL_T5_
    .private_segment_fixed_size: 0
    .sgpr_count:     30
    .sgpr_spill_count: 0
    .symbol:         _ZN7rocprim17ROCPRIM_304000_NS6detail33device_block_merge_oddeven_kernelINS1_37wrapped_merge_sort_block_merge_configINS0_14default_configEmN2at4cuda3cub6detail10OpaqueTypeILi8EEEEEPmSC_PSA_SD_jNS1_19radix_merge_compareILb0ELb1EmNS0_19identity_decomposerEEEEEvT0_T1_T2_T3_T4_SL_T5_.kd
    .uniform_work_group_size: 1
    .uses_dynamic_stack: false
    .vgpr_count:     15
    .vgpr_spill_count: 0
    .wavefront_size: 64
  - .agpr_count:     0
    .args:
      - .address_space:  global
        .offset:         0
        .size:           8
        .value_kind:     global_buffer
      - .address_space:  global
        .offset:         8
        .size:           8
        .value_kind:     global_buffer
      - .offset:         16
        .size:           8
        .value_kind:     by_value
      - .offset:         24
        .size:           8
        .value_kind:     by_value
      - .offset:         32
        .size:           1
        .value_kind:     by_value
      - .offset:         36
        .size:           4
        .value_kind:     by_value
      - .offset:         40
        .size:           4
        .value_kind:     by_value
    .group_segment_fixed_size: 11264
    .kernarg_segment_align: 8
    .kernarg_segment_size: 44
    .language:       OpenCL C
    .language_version:
      - 2
      - 0
    .max_flat_workgroup_size: 1024
    .name:           _ZN7rocprim17ROCPRIM_304000_NS6detail26onesweep_histograms_kernelINS1_34wrapped_radix_sort_onesweep_configINS0_14default_configEmN2at4cuda3cub6detail10OpaqueTypeILi8EEEEELb0EPKmmNS0_19identity_decomposerEEEvT1_PT2_SG_SG_T3_jj
    .private_segment_fixed_size: 0
    .sgpr_count:     34
    .sgpr_spill_count: 0
    .symbol:         _ZN7rocprim17ROCPRIM_304000_NS6detail26onesweep_histograms_kernelINS1_34wrapped_radix_sort_onesweep_configINS0_14default_configEmN2at4cuda3cub6detail10OpaqueTypeILi8EEEEELb0EPKmmNS0_19identity_decomposerEEEvT1_PT2_SG_SG_T3_jj.kd
    .uniform_work_group_size: 1
    .uses_dynamic_stack: false
    .vgpr_count:     26
    .vgpr_spill_count: 0
    .wavefront_size: 64
  - .agpr_count:     0
    .args:
      - .address_space:  global
        .offset:         0
        .size:           8
        .value_kind:     global_buffer
      - .address_space:  global
        .offset:         8
        .size:           8
        .value_kind:     global_buffer
      - .address_space:  global
        .offset:         16
        .size:           8
        .value_kind:     global_buffer
      - .address_space:  global
        .offset:         24
        .size:           8
        .value_kind:     global_buffer
      - .offset:         32
        .size:           4
        .value_kind:     by_value
      - .address_space:  global
        .offset:         40
        .size:           8
        .value_kind:     global_buffer
      - .address_space:  global
        .offset:         48
        .size:           8
        .value_kind:     global_buffer
      - .address_space:  global
        .offset:         56
        .size:           8
        .value_kind:     global_buffer
      - .offset:         64
        .size:           1
        .value_kind:     by_value
      - .offset:         68
        .size:           4
        .value_kind:     by_value
      - .offset:         72
        .size:           4
        .value_kind:     by_value
      - .offset:         76
        .size:           4
        .value_kind:     by_value
      - .offset:         80
        .size:           4
        .value_kind:     hidden_block_count_x
      - .offset:         84
        .size:           4
        .value_kind:     hidden_block_count_y
      - .offset:         88
        .size:           4
        .value_kind:     hidden_block_count_z
      - .offset:         92
        .size:           2
        .value_kind:     hidden_group_size_x
      - .offset:         94
        .size:           2
        .value_kind:     hidden_group_size_y
      - .offset:         96
        .size:           2
        .value_kind:     hidden_group_size_z
      - .offset:         98
        .size:           2
        .value_kind:     hidden_remainder_x
      - .offset:         100
        .size:           2
        .value_kind:     hidden_remainder_y
      - .offset:         102
        .size:           2
        .value_kind:     hidden_remainder_z
      - .offset:         120
        .size:           8
        .value_kind:     hidden_global_offset_x
      - .offset:         128
        .size:           8
        .value_kind:     hidden_global_offset_y
      - .offset:         136
        .size:           8
        .value_kind:     hidden_global_offset_z
      - .offset:         144
        .size:           2
        .value_kind:     hidden_grid_dims
    .group_segment_fixed_size: 49664
    .kernarg_segment_align: 8
    .kernarg_segment_size: 336
    .language:       OpenCL C
    .language_version:
      - 2
      - 0
    .max_flat_workgroup_size: 1024
    .name:           _ZN7rocprim17ROCPRIM_304000_NS6detail25onesweep_iteration_kernelINS1_34wrapped_radix_sort_onesweep_configINS0_14default_configEmN2at4cuda3cub6detail10OpaqueTypeILi8EEEEELb0EPKmPmPKSA_PSA_mNS0_19identity_decomposerEEEvT1_T2_T3_T4_jPT5_SO_PNS1_23onesweep_lookback_stateET6_jjj
    .private_segment_fixed_size: 0
    .sgpr_count:     58
    .sgpr_spill_count: 0
    .symbol:         _ZN7rocprim17ROCPRIM_304000_NS6detail25onesweep_iteration_kernelINS1_34wrapped_radix_sort_onesweep_configINS0_14default_configEmN2at4cuda3cub6detail10OpaqueTypeILi8EEEEELb0EPKmPmPKSA_PSA_mNS0_19identity_decomposerEEEvT1_T2_T3_T4_jPT5_SO_PNS1_23onesweep_lookback_stateET6_jjj.kd
    .uniform_work_group_size: 1
    .uses_dynamic_stack: false
    .vgpr_count:     42
    .vgpr_spill_count: 0
    .wavefront_size: 64
  - .agpr_count:     0
    .args:
      - .address_space:  global
        .offset:         0
        .size:           8
        .value_kind:     global_buffer
      - .address_space:  global
        .offset:         8
        .size:           8
        .value_kind:     global_buffer
      - .address_space:  global
        .offset:         16
        .size:           8
        .value_kind:     global_buffer
      - .address_space:  global
        .offset:         24
        .size:           8
        .value_kind:     global_buffer
      - .offset:         32
        .size:           4
        .value_kind:     by_value
      - .address_space:  global
        .offset:         40
        .size:           8
        .value_kind:     global_buffer
      - .address_space:  global
        .offset:         48
        .size:           8
        .value_kind:     global_buffer
      - .address_space:  global
        .offset:         56
        .size:           8
        .value_kind:     global_buffer
      - .offset:         64
        .size:           1
        .value_kind:     by_value
      - .offset:         68
        .size:           4
        .value_kind:     by_value
      - .offset:         72
        .size:           4
        .value_kind:     by_value
      - .offset:         76
        .size:           4
        .value_kind:     by_value
      - .offset:         80
        .size:           4
        .value_kind:     hidden_block_count_x
      - .offset:         84
        .size:           4
        .value_kind:     hidden_block_count_y
      - .offset:         88
        .size:           4
        .value_kind:     hidden_block_count_z
      - .offset:         92
        .size:           2
        .value_kind:     hidden_group_size_x
      - .offset:         94
        .size:           2
        .value_kind:     hidden_group_size_y
      - .offset:         96
        .size:           2
        .value_kind:     hidden_group_size_z
      - .offset:         98
        .size:           2
        .value_kind:     hidden_remainder_x
      - .offset:         100
        .size:           2
        .value_kind:     hidden_remainder_y
      - .offset:         102
        .size:           2
        .value_kind:     hidden_remainder_z
      - .offset:         120
        .size:           8
        .value_kind:     hidden_global_offset_x
      - .offset:         128
        .size:           8
        .value_kind:     hidden_global_offset_y
      - .offset:         136
        .size:           8
        .value_kind:     hidden_global_offset_z
      - .offset:         144
        .size:           2
        .value_kind:     hidden_grid_dims
    .group_segment_fixed_size: 49664
    .kernarg_segment_align: 8
    .kernarg_segment_size: 336
    .language:       OpenCL C
    .language_version:
      - 2
      - 0
    .max_flat_workgroup_size: 1024
    .name:           _ZN7rocprim17ROCPRIM_304000_NS6detail25onesweep_iteration_kernelINS1_34wrapped_radix_sort_onesweep_configINS0_14default_configEmN2at4cuda3cub6detail10OpaqueTypeILi8EEEEELb0EPmSC_PSA_SD_mNS0_19identity_decomposerEEEvT1_T2_T3_T4_jPT5_SK_PNS1_23onesweep_lookback_stateET6_jjj
    .private_segment_fixed_size: 0
    .sgpr_count:     58
    .sgpr_spill_count: 0
    .symbol:         _ZN7rocprim17ROCPRIM_304000_NS6detail25onesweep_iteration_kernelINS1_34wrapped_radix_sort_onesweep_configINS0_14default_configEmN2at4cuda3cub6detail10OpaqueTypeILi8EEEEELb0EPmSC_PSA_SD_mNS0_19identity_decomposerEEEvT1_T2_T3_T4_jPT5_SK_PNS1_23onesweep_lookback_stateET6_jjj.kd
    .uniform_work_group_size: 1
    .uses_dynamic_stack: false
    .vgpr_count:     42
    .vgpr_spill_count: 0
    .wavefront_size: 64
amdhsa.target:   amdgcn-amd-amdhsa--gfx950
amdhsa.version:
  - 1
  - 2
...

	.end_amdgpu_metadata
